;; amdgpu-corpus repo=ROCm/rocFFT kind=compiled arch=gfx906 opt=O3
	.text
	.amdgcn_target "amdgcn-amd-amdhsa--gfx906"
	.amdhsa_code_object_version 6
	.protected	fft_rtc_back_len4050_factors_10_5_3_3_3_3_wgs_135_tpt_135_halfLds_sp_op_CI_CI_unitstride_sbrr_C2R_dirReg ; -- Begin function fft_rtc_back_len4050_factors_10_5_3_3_3_3_wgs_135_tpt_135_halfLds_sp_op_CI_CI_unitstride_sbrr_C2R_dirReg
	.globl	fft_rtc_back_len4050_factors_10_5_3_3_3_3_wgs_135_tpt_135_halfLds_sp_op_CI_CI_unitstride_sbrr_C2R_dirReg
	.p2align	8
	.type	fft_rtc_back_len4050_factors_10_5_3_3_3_3_wgs_135_tpt_135_halfLds_sp_op_CI_CI_unitstride_sbrr_C2R_dirReg,@function
fft_rtc_back_len4050_factors_10_5_3_3_3_3_wgs_135_tpt_135_halfLds_sp_op_CI_CI_unitstride_sbrr_C2R_dirReg: ; @fft_rtc_back_len4050_factors_10_5_3_3_3_3_wgs_135_tpt_135_halfLds_sp_op_CI_CI_unitstride_sbrr_C2R_dirReg
; %bb.0:
	s_load_dwordx4 s[8:11], s[4:5], 0x58
	s_load_dwordx4 s[12:15], s[4:5], 0x0
	;; [unrolled: 1-line block ×3, first 2 shown]
	v_mul_u32_u24_e32 v1, 0x1e6, v0
	v_add_u32_sdwa v5, s6, v1 dst_sel:DWORD dst_unused:UNUSED_PAD src0_sel:DWORD src1_sel:WORD_1
	v_mov_b32_e32 v3, 0
	s_waitcnt lgkmcnt(0)
	v_cmp_lt_u64_e64 s[0:1], s[14:15], 2
	v_mov_b32_e32 v1, 0
	v_mov_b32_e32 v6, v3
	s_and_b64 vcc, exec, s[0:1]
	v_mov_b32_e32 v2, 0
	s_cbranch_vccnz .LBB0_8
; %bb.1:
	s_load_dwordx2 s[0:1], s[4:5], 0x10
	s_add_u32 s2, s18, 8
	s_addc_u32 s3, s19, 0
	s_add_u32 s6, s16, 8
	v_mov_b32_e32 v1, 0
	s_addc_u32 s7, s17, 0
	v_mov_b32_e32 v2, 0
	s_waitcnt lgkmcnt(0)
	s_add_u32 s20, s0, 8
	v_mov_b32_e32 v61, v2
	s_addc_u32 s21, s1, 0
	s_mov_b64 s[22:23], 1
	v_mov_b32_e32 v60, v1
.LBB0_2:                                ; =>This Inner Loop Header: Depth=1
	s_load_dwordx2 s[24:25], s[20:21], 0x0
                                        ; implicit-def: $vgpr64_vgpr65
	s_waitcnt lgkmcnt(0)
	v_or_b32_e32 v4, s25, v6
	v_cmp_ne_u64_e32 vcc, 0, v[3:4]
	s_and_saveexec_b64 s[0:1], vcc
	s_xor_b64 s[26:27], exec, s[0:1]
	s_cbranch_execz .LBB0_4
; %bb.3:                                ;   in Loop: Header=BB0_2 Depth=1
	v_cvt_f32_u32_e32 v4, s24
	v_cvt_f32_u32_e32 v7, s25
	s_sub_u32 s0, 0, s24
	s_subb_u32 s1, 0, s25
	v_mac_f32_e32 v4, 0x4f800000, v7
	v_rcp_f32_e32 v4, v4
	v_mul_f32_e32 v4, 0x5f7ffffc, v4
	v_mul_f32_e32 v7, 0x2f800000, v4
	v_trunc_f32_e32 v7, v7
	v_mac_f32_e32 v4, 0xcf800000, v7
	v_cvt_u32_f32_e32 v7, v7
	v_cvt_u32_f32_e32 v4, v4
	v_mul_lo_u32 v8, s0, v7
	v_mul_hi_u32 v9, s0, v4
	v_mul_lo_u32 v11, s1, v4
	v_mul_lo_u32 v10, s0, v4
	v_add_u32_e32 v8, v9, v8
	v_add_u32_e32 v8, v8, v11
	v_mul_hi_u32 v9, v4, v10
	v_mul_lo_u32 v11, v4, v8
	v_mul_hi_u32 v13, v4, v8
	v_mul_hi_u32 v12, v7, v10
	v_mul_lo_u32 v10, v7, v10
	v_mul_hi_u32 v14, v7, v8
	v_add_co_u32_e32 v9, vcc, v9, v11
	v_addc_co_u32_e32 v11, vcc, 0, v13, vcc
	v_mul_lo_u32 v8, v7, v8
	v_add_co_u32_e32 v9, vcc, v9, v10
	v_addc_co_u32_e32 v9, vcc, v11, v12, vcc
	v_addc_co_u32_e32 v10, vcc, 0, v14, vcc
	v_add_co_u32_e32 v8, vcc, v9, v8
	v_addc_co_u32_e32 v9, vcc, 0, v10, vcc
	v_add_co_u32_e32 v4, vcc, v4, v8
	v_addc_co_u32_e32 v7, vcc, v7, v9, vcc
	v_mul_lo_u32 v8, s0, v7
	v_mul_hi_u32 v9, s0, v4
	v_mul_lo_u32 v10, s1, v4
	v_mul_lo_u32 v11, s0, v4
	v_add_u32_e32 v8, v9, v8
	v_add_u32_e32 v8, v8, v10
	v_mul_lo_u32 v12, v4, v8
	v_mul_hi_u32 v13, v4, v11
	v_mul_hi_u32 v14, v4, v8
	v_mul_hi_u32 v10, v7, v11
	v_mul_lo_u32 v11, v7, v11
	v_mul_hi_u32 v9, v7, v8
	v_add_co_u32_e32 v12, vcc, v13, v12
	v_addc_co_u32_e32 v13, vcc, 0, v14, vcc
	v_mul_lo_u32 v8, v7, v8
	v_add_co_u32_e32 v11, vcc, v12, v11
	v_addc_co_u32_e32 v10, vcc, v13, v10, vcc
	v_addc_co_u32_e32 v9, vcc, 0, v9, vcc
	v_add_co_u32_e32 v8, vcc, v10, v8
	v_addc_co_u32_e32 v9, vcc, 0, v9, vcc
	v_add_co_u32_e32 v4, vcc, v4, v8
	v_addc_co_u32_e32 v9, vcc, v7, v9, vcc
	v_mad_u64_u32 v[7:8], s[0:1], v5, v9, 0
	v_mul_hi_u32 v10, v5, v4
	v_add_co_u32_e32 v11, vcc, v10, v7
	v_addc_co_u32_e32 v12, vcc, 0, v8, vcc
	v_mad_u64_u32 v[7:8], s[0:1], v6, v4, 0
	v_mad_u64_u32 v[9:10], s[0:1], v6, v9, 0
	v_add_co_u32_e32 v4, vcc, v11, v7
	v_addc_co_u32_e32 v4, vcc, v12, v8, vcc
	v_addc_co_u32_e32 v7, vcc, 0, v10, vcc
	v_add_co_u32_e32 v4, vcc, v4, v9
	v_addc_co_u32_e32 v9, vcc, 0, v7, vcc
	v_mul_lo_u32 v10, s25, v4
	v_mul_lo_u32 v11, s24, v9
	v_mad_u64_u32 v[7:8], s[0:1], s24, v4, 0
	v_add3_u32 v8, v8, v11, v10
	v_sub_u32_e32 v10, v6, v8
	v_mov_b32_e32 v11, s25
	v_sub_co_u32_e32 v7, vcc, v5, v7
	v_subb_co_u32_e64 v10, s[0:1], v10, v11, vcc
	v_subrev_co_u32_e64 v11, s[0:1], s24, v7
	v_subbrev_co_u32_e64 v10, s[0:1], 0, v10, s[0:1]
	v_cmp_le_u32_e64 s[0:1], s25, v10
	v_cndmask_b32_e64 v12, 0, -1, s[0:1]
	v_cmp_le_u32_e64 s[0:1], s24, v11
	v_cndmask_b32_e64 v11, 0, -1, s[0:1]
	v_cmp_eq_u32_e64 s[0:1], s25, v10
	v_cndmask_b32_e64 v10, v12, v11, s[0:1]
	v_add_co_u32_e64 v11, s[0:1], 2, v4
	v_addc_co_u32_e64 v12, s[0:1], 0, v9, s[0:1]
	v_add_co_u32_e64 v13, s[0:1], 1, v4
	v_addc_co_u32_e64 v14, s[0:1], 0, v9, s[0:1]
	v_subb_co_u32_e32 v8, vcc, v6, v8, vcc
	v_cmp_ne_u32_e64 s[0:1], 0, v10
	v_cmp_le_u32_e32 vcc, s25, v8
	v_cndmask_b32_e64 v10, v14, v12, s[0:1]
	v_cndmask_b32_e64 v12, 0, -1, vcc
	v_cmp_le_u32_e32 vcc, s24, v7
	v_cndmask_b32_e64 v7, 0, -1, vcc
	v_cmp_eq_u32_e32 vcc, s25, v8
	v_cndmask_b32_e32 v7, v12, v7, vcc
	v_cmp_ne_u32_e32 vcc, 0, v7
	v_cndmask_b32_e64 v7, v13, v11, s[0:1]
	v_cndmask_b32_e32 v65, v9, v10, vcc
	v_cndmask_b32_e32 v64, v4, v7, vcc
.LBB0_4:                                ;   in Loop: Header=BB0_2 Depth=1
	s_andn2_saveexec_b64 s[0:1], s[26:27]
	s_cbranch_execz .LBB0_6
; %bb.5:                                ;   in Loop: Header=BB0_2 Depth=1
	v_cvt_f32_u32_e32 v4, s24
	s_sub_i32 s26, 0, s24
	v_mov_b32_e32 v65, v3
	v_rcp_iflag_f32_e32 v4, v4
	v_mul_f32_e32 v4, 0x4f7ffffe, v4
	v_cvt_u32_f32_e32 v4, v4
	v_mul_lo_u32 v7, s26, v4
	v_mul_hi_u32 v7, v4, v7
	v_add_u32_e32 v4, v4, v7
	v_mul_hi_u32 v4, v5, v4
	v_mul_lo_u32 v7, v4, s24
	v_add_u32_e32 v8, 1, v4
	v_sub_u32_e32 v7, v5, v7
	v_subrev_u32_e32 v9, s24, v7
	v_cmp_le_u32_e32 vcc, s24, v7
	v_cndmask_b32_e32 v7, v7, v9, vcc
	v_cndmask_b32_e32 v4, v4, v8, vcc
	v_add_u32_e32 v8, 1, v4
	v_cmp_le_u32_e32 vcc, s24, v7
	v_cndmask_b32_e32 v64, v4, v8, vcc
.LBB0_6:                                ;   in Loop: Header=BB0_2 Depth=1
	s_or_b64 exec, exec, s[0:1]
	v_mul_lo_u32 v4, v65, s24
	v_mul_lo_u32 v9, v64, s25
	v_mad_u64_u32 v[7:8], s[0:1], v64, s24, 0
	s_load_dwordx2 s[0:1], s[6:7], 0x0
	s_load_dwordx2 s[24:25], s[2:3], 0x0
	v_add3_u32 v4, v8, v9, v4
	v_sub_co_u32_e32 v5, vcc, v5, v7
	v_subb_co_u32_e32 v4, vcc, v6, v4, vcc
	s_waitcnt lgkmcnt(0)
	v_mul_lo_u32 v6, s0, v4
	v_mul_lo_u32 v7, s1, v5
	v_mad_u64_u32 v[1:2], s[0:1], s0, v5, v[1:2]
	v_mul_lo_u32 v4, s24, v4
	v_mul_lo_u32 v8, s25, v5
	v_mad_u64_u32 v[60:61], s[0:1], s24, v5, v[60:61]
	s_add_u32 s22, s22, 1
	s_addc_u32 s23, s23, 0
	s_add_u32 s2, s2, 8
	v_add3_u32 v61, v8, v61, v4
	s_addc_u32 s3, s3, 0
	v_mov_b32_e32 v4, s14
	s_add_u32 s6, s6, 8
	v_mov_b32_e32 v5, s15
	s_addc_u32 s7, s7, 0
	v_cmp_ge_u64_e32 vcc, s[22:23], v[4:5]
	s_add_u32 s20, s20, 8
	v_add3_u32 v2, v7, v2, v6
	s_addc_u32 s21, s21, 0
	s_cbranch_vccnz .LBB0_9
; %bb.7:                                ;   in Loop: Header=BB0_2 Depth=1
	v_mov_b32_e32 v5, v64
	v_mov_b32_e32 v6, v65
	s_branch .LBB0_2
.LBB0_8:
	v_mov_b32_e32 v61, v2
	v_mov_b32_e32 v65, v6
	;; [unrolled: 1-line block ×4, first 2 shown]
.LBB0_9:
	s_load_dwordx2 s[4:5], s[4:5], 0x28
	s_lshl_b64 s[6:7], s[14:15], 3
	s_add_u32 s2, s18, s6
	s_addc_u32 s3, s19, s7
                                        ; implicit-def: $vgpr62
	s_waitcnt lgkmcnt(0)
	v_cmp_gt_u64_e64 s[0:1], s[4:5], v[64:65]
	v_cmp_le_u64_e32 vcc, s[4:5], v[64:65]
	s_and_saveexec_b64 s[4:5], vcc
	s_xor_b64 s[4:5], exec, s[4:5]
; %bb.10:
	s_mov_b32 s14, 0x1e573ad
	v_mul_hi_u32 v1, v0, s14
	v_mul_u32_u24_e32 v1, 0x87, v1
	v_sub_u32_e32 v62, v0, v1
                                        ; implicit-def: $vgpr0
                                        ; implicit-def: $vgpr1_vgpr2
; %bb.11:
	s_or_saveexec_b64 s[4:5], s[4:5]
	s_load_dwordx2 s[2:3], s[2:3], 0x0
	s_xor_b64 exec, exec, s[4:5]
	s_cbranch_execz .LBB0_15
; %bb.12:
	s_add_u32 s6, s16, s6
	s_addc_u32 s7, s17, s7
	s_load_dwordx2 s[6:7], s[6:7], 0x0
	s_mov_b32 s14, 0x1e573ad
	v_mul_hi_u32 v5, v0, s14
	v_lshlrev_b64 v[1:2], 3, v[1:2]
	s_waitcnt lgkmcnt(0)
	v_mul_lo_u32 v6, s7, v64
	v_mul_lo_u32 v7, s6, v65
	v_mad_u64_u32 v[3:4], s[6:7], s6, v64, 0
	v_mul_u32_u24_e32 v5, 0x87, v5
	v_sub_u32_e32 v62, v0, v5
	v_add3_u32 v4, v4, v7, v6
	v_lshlrev_b64 v[3:4], 3, v[3:4]
	v_mov_b32_e32 v0, s9
	v_add_co_u32_e32 v3, vcc, s8, v3
	v_addc_co_u32_e32 v0, vcc, v0, v4, vcc
	v_add_co_u32_e32 v1, vcc, v3, v1
	v_addc_co_u32_e32 v0, vcc, v0, v2, vcc
	v_lshlrev_b32_e32 v63, 3, v62
	v_add_co_u32_e32 v2, vcc, v1, v63
	v_addc_co_u32_e32 v3, vcc, 0, v0, vcc
	s_movk_i32 s6, 0x1000
	v_add_co_u32_e32 v8, vcc, s6, v2
	v_addc_co_u32_e32 v9, vcc, 0, v3, vcc
	s_movk_i32 s6, 0x2000
	global_load_dwordx2 v[4:5], v[2:3], off offset:2160
	global_load_dwordx2 v[6:7], v[2:3], off offset:3240
	global_load_dwordx2 v[10:11], v[8:9], off offset:224
	global_load_dwordx2 v[12:13], v[8:9], off offset:1304
	global_load_dwordx2 v[14:15], v[8:9], off offset:2384
	global_load_dwordx2 v[16:17], v[8:9], off offset:3464
	v_add_co_u32_e32 v8, vcc, s6, v2
	v_addc_co_u32_e32 v9, vcc, 0, v3, vcc
	s_movk_i32 s6, 0x3000
	global_load_dwordx2 v[18:19], v[8:9], off offset:448
	global_load_dwordx2 v[20:21], v[8:9], off offset:1528
	;; [unrolled: 1-line block ×4, first 2 shown]
	v_add_co_u32_e32 v8, vcc, s6, v2
	v_addc_co_u32_e32 v9, vcc, 0, v3, vcc
	s_movk_i32 s6, 0x4000
	global_load_dwordx2 v[26:27], v[8:9], off offset:672
	global_load_dwordx2 v[28:29], v[8:9], off offset:1752
	;; [unrolled: 1-line block ×4, first 2 shown]
	v_add_co_u32_e32 v8, vcc, s6, v2
	v_addc_co_u32_e32 v9, vcc, 0, v3, vcc
	s_movk_i32 s6, 0x5000
	v_add_co_u32_e32 v34, vcc, s6, v2
	v_addc_co_u32_e32 v35, vcc, 0, v3, vcc
	global_load_dwordx2 v[36:37], v[8:9], off offset:896
	global_load_dwordx2 v[38:39], v[8:9], off offset:1976
	;; [unrolled: 1-line block ×4, first 2 shown]
	global_load_dwordx2 v[44:45], v[2:3], off
	global_load_dwordx2 v[46:47], v[2:3], off offset:1080
	s_movk_i32 s6, 0x6000
	v_add_co_u32_e32 v8, vcc, s6, v2
	v_addc_co_u32_e32 v9, vcc, 0, v3, vcc
	global_load_dwordx2 v[48:49], v[34:35], off offset:1120
	global_load_dwordx2 v[50:51], v[34:35], off offset:2200
	;; [unrolled: 1-line block ×4, first 2 shown]
	v_add_co_u32_e32 v2, vcc, 0x7000, v2
	v_addc_co_u32_e32 v3, vcc, 0, v3, vcc
	global_load_dwordx2 v[34:35], v[8:9], off offset:1344
	global_load_dwordx2 v[56:57], v[8:9], off offset:2424
	;; [unrolled: 1-line block ×6, first 2 shown]
	v_add_u32_e32 v2, 0, v63
	v_add_u32_e32 v3, 0x800, v2
	;; [unrolled: 1-line block ×3, first 2 shown]
	s_movk_i32 s6, 0x86
	v_cmp_eq_u32_e32 vcc, s6, v62
	s_waitcnt vmcnt(28)
	ds_write2_b64 v3, v[4:5], v[6:7] offset0:14 offset1:149
	s_waitcnt vmcnt(26)
	ds_write2_b64 v8, v[10:11], v[12:13] offset0:28 offset1:163
	v_add_u32_e32 v3, 0x1800, v2
	s_waitcnt vmcnt(24)
	ds_write2_b64 v3, v[14:15], v[16:17] offset0:42 offset1:177
	v_add_u32_e32 v3, 0x2000, v2
	s_waitcnt vmcnt(22)
	ds_write2_b64 v3, v[18:19], v[20:21] offset0:56 offset1:191
	v_add_u32_e32 v3, 0x2800, v2
	s_waitcnt vmcnt(20)
	ds_write2_b64 v3, v[22:23], v[24:25] offset0:70 offset1:205
	v_add_u32_e32 v3, 0x3000, v2
	s_waitcnt vmcnt(18)
	ds_write2_b64 v3, v[26:27], v[28:29] offset0:84 offset1:219
	v_add_u32_e32 v3, 0x3800, v2
	s_waitcnt vmcnt(16)
	ds_write2_b64 v3, v[30:31], v[32:33] offset0:98 offset1:233
	v_add_u32_e32 v3, 0x4000, v2
	s_waitcnt vmcnt(14)
	ds_write2_b64 v3, v[36:37], v[38:39] offset0:112 offset1:247
	v_add_u32_e32 v3, 0x4a00, v2
	s_waitcnt vmcnt(10)
	ds_write2_b64 v2, v[44:45], v[46:47] offset1:135
	ds_write2_b64 v3, v[40:41], v[42:43] offset0:62 offset1:197
	v_add_u32_e32 v3, 0x5400, v2
	s_waitcnt vmcnt(8)
	ds_write2_b64 v3, v[48:49], v[50:51] offset0:12 offset1:147
	v_add_u32_e32 v3, 0x5c00, v2
	s_waitcnt vmcnt(6)
	;; [unrolled: 3-line block ×3, first 2 shown]
	ds_write2_b64 v3, v[34:35], v[56:57] offset0:40 offset1:175
	v_add_u32_e32 v3, 0x6c00, v2
	v_add_u32_e32 v2, 0x7400, v2
	s_waitcnt vmcnt(2)
	ds_write2_b64 v3, v[58:59], v[66:67] offset0:54 offset1:189
	s_waitcnt vmcnt(0)
	ds_write2_b64 v2, v[68:69], v[70:71] offset0:68 offset1:203
	s_and_saveexec_b64 s[6:7], vcc
	s_cbranch_execz .LBB0_14
; %bb.13:
	v_add_co_u32_e32 v1, vcc, 0x7000, v1
	v_addc_co_u32_e32 v2, vcc, 0, v0, vcc
	global_load_dwordx2 v[0:1], v[1:2], off offset:3728
	v_mov_b32_e32 v2, 0
	v_mov_b32_e32 v62, 0x86
	s_waitcnt vmcnt(0)
	ds_write_b64 v2, v[0:1] offset:32400
.LBB0_14:
	s_or_b64 exec, exec, s[6:7]
.LBB0_15:
	s_or_b64 exec, exec, s[4:5]
	v_lshlrev_b32_e32 v0, 3, v62
	v_add_u32_e32 v66, 0, v0
	s_waitcnt lgkmcnt(0)
	s_barrier
	v_sub_u32_e32 v4, 0, v0
	ds_read_b32 v5, v66
	ds_read_b32 v6, v4 offset:32400
	s_add_u32 s6, s12, 0x7e40
	s_addc_u32 s7, s13, 0
	v_cmp_ne_u32_e32 vcc, 0, v62
                                        ; implicit-def: $vgpr0_vgpr1
	s_waitcnt lgkmcnt(0)
	v_add_f32_e32 v2, v6, v5
	v_sub_f32_e32 v3, v5, v6
	s_and_saveexec_b64 s[4:5], vcc
	s_xor_b64 s[4:5], exec, s[4:5]
	s_cbranch_execz .LBB0_17
; %bb.16:
	v_mov_b32_e32 v63, 0
	v_lshlrev_b64 v[0:1], 3, v[62:63]
	v_mov_b32_e32 v2, s7
	v_add_co_u32_e32 v0, vcc, s6, v0
	v_addc_co_u32_e32 v1, vcc, v2, v1, vcc
	global_load_dwordx2 v[0:1], v[0:1], off
	ds_read_b32 v2, v4 offset:32404
	ds_read_b32 v3, v66 offset:4
	v_add_f32_e32 v7, v6, v5
	v_sub_f32_e32 v8, v5, v6
	s_waitcnt lgkmcnt(0)
	v_add_f32_e32 v9, v2, v3
	v_sub_f32_e32 v2, v3, v2
	s_waitcnt vmcnt(0)
	v_fma_f32 v10, v8, v1, v7
	v_fma_f32 v3, v9, v1, v2
	v_fma_f32 v5, -v8, v1, v7
	v_fma_f32 v6, v9, v1, -v2
	v_fma_f32 v2, -v0, v9, v10
	v_fmac_f32_e32 v3, v8, v0
	v_fmac_f32_e32 v5, v0, v9
	;; [unrolled: 1-line block ×3, first 2 shown]
	v_mov_b32_e32 v0, v62
	ds_write_b64 v4, v[5:6] offset:32400
	v_mov_b32_e32 v1, v63
.LBB0_17:
	s_andn2_saveexec_b64 s[4:5], s[4:5]
	s_cbranch_execz .LBB0_19
; %bb.18:
	v_mov_b32_e32 v7, 0
	ds_read_b64 v[0:1], v7 offset:16200
	s_waitcnt lgkmcnt(0)
	v_add_f32_e32 v5, v0, v0
	v_mul_f32_e32 v6, -2.0, v1
	v_mov_b32_e32 v0, 0
	v_mov_b32_e32 v1, 0
	ds_write_b64 v7, v[5:6] offset:16200
.LBB0_19:
	s_or_b64 exec, exec, s[4:5]
	v_lshlrev_b64 v[0:1], 3, v[0:1]
	v_mov_b32_e32 v5, s7
	v_add_co_u32_e32 v0, vcc, s6, v0
	v_addc_co_u32_e32 v1, vcc, v5, v1, vcc
	global_load_dwordx2 v[5:6], v[0:1], off offset:1080
	global_load_dwordx2 v[7:8], v[0:1], off offset:2160
	;; [unrolled: 1-line block ×3, first 2 shown]
	s_movk_i32 s4, 0x1000
	v_add_co_u32_e32 v11, vcc, s4, v0
	v_addc_co_u32_e32 v12, vcc, 0, v1, vcc
	global_load_dwordx2 v[13:14], v[11:12], off offset:224
	ds_write_b64 v66, v[2:3]
	ds_read_b64 v[2:3], v66 offset:1080
	ds_read_b64 v[15:16], v4 offset:31320
	global_load_dwordx2 v[17:18], v[11:12], off offset:1304
	s_movk_i32 s4, 0x2000
	s_movk_i32 s5, 0x3000
	v_add_u32_e32 v67, 0x1800, v66
	s_waitcnt lgkmcnt(0)
	v_add_f32_e32 v19, v2, v15
	v_add_f32_e32 v20, v16, v3
	v_sub_f32_e32 v21, v2, v15
	v_sub_f32_e32 v15, v3, v16
	v_add_u32_e32 v69, 0x3000, v66
	v_add_u32_e32 v63, 0x4a00, v66
	;; [unrolled: 1-line block ×8, first 2 shown]
	v_mul_u32_u24_e32 v108, 10, v62
	v_lshl_add_u32 v108, v108, 3, 0
	v_add_u32_e32 v78, 0x800, v66
	v_add_u32_e32 v75, 0x2000, v66
	;; [unrolled: 1-line block ×6, first 2 shown]
	s_mov_b32 s6, 0x91a3
	s_waitcnt vmcnt(4)
	v_fma_f32 v22, v21, v6, v19
	v_fma_f32 v16, v20, v6, v15
	v_fma_f32 v2, -v21, v6, v19
	v_fma_f32 v3, v20, v6, -v15
	v_fma_f32 v15, -v5, v20, v22
	v_fmac_f32_e32 v16, v21, v5
	v_fmac_f32_e32 v2, v5, v20
	;; [unrolled: 1-line block ×3, first 2 shown]
	ds_write_b64 v66, v[15:16] offset:1080
	ds_write_b64 v4, v[2:3] offset:31320
	ds_read_b64 v[2:3], v66 offset:2160
	ds_read_b64 v[5:6], v4 offset:30240
	global_load_dwordx2 v[15:16], v[11:12], off offset:2384
	s_waitcnt lgkmcnt(0)
	v_add_f32_e32 v19, v2, v5
	v_add_f32_e32 v20, v6, v3
	v_sub_f32_e32 v21, v2, v5
	v_sub_f32_e32 v5, v3, v6
	s_waitcnt vmcnt(4)
	v_fma_f32 v22, v21, v8, v19
	v_fma_f32 v6, v20, v8, v5
	v_fma_f32 v2, -v21, v8, v19
	v_fma_f32 v3, v20, v8, -v5
	v_fma_f32 v5, -v7, v20, v22
	v_fmac_f32_e32 v6, v21, v7
	v_fmac_f32_e32 v2, v7, v20
	;; [unrolled: 1-line block ×3, first 2 shown]
	ds_write_b64 v66, v[5:6] offset:2160
	ds_write_b64 v4, v[2:3] offset:30240
	ds_read_b64 v[2:3], v66 offset:3240
	ds_read_b64 v[5:6], v4 offset:29160
	global_load_dwordx2 v[7:8], v[11:12], off offset:3464
	s_waitcnt lgkmcnt(0)
	v_add_f32_e32 v11, v2, v5
	v_add_f32_e32 v12, v6, v3
	v_sub_f32_e32 v19, v2, v5
	v_sub_f32_e32 v2, v3, v6
	s_waitcnt vmcnt(4)
	v_fma_f32 v20, v19, v10, v11
	v_fma_f32 v3, v12, v10, v2
	v_fma_f32 v5, -v19, v10, v11
	v_fma_f32 v6, v12, v10, -v2
	v_fma_f32 v2, -v9, v12, v20
	v_fmac_f32_e32 v3, v19, v9
	v_fmac_f32_e32 v5, v9, v12
	;; [unrolled: 1-line block ×3, first 2 shown]
	v_add_co_u32_e32 v9, vcc, s4, v0
	ds_write_b64 v66, v[2:3] offset:3240
	ds_write_b64 v4, v[5:6] offset:29160
	v_addc_co_u32_e32 v10, vcc, 0, v1, vcc
	ds_read_b64 v[2:3], v66 offset:4320
	ds_read_b64 v[5:6], v4 offset:28080
	global_load_dwordx2 v[11:12], v[9:10], off offset:448
	v_add_co_u32_e32 v0, vcc, s5, v0
	v_addc_co_u32_e32 v1, vcc, 0, v1, vcc
	s_waitcnt lgkmcnt(0)
	v_add_f32_e32 v19, v2, v5
	v_add_f32_e32 v20, v6, v3
	v_sub_f32_e32 v21, v2, v5
	v_sub_f32_e32 v2, v3, v6
	s_waitcnt vmcnt(4)
	v_fma_f32 v22, v21, v14, v19
	v_fma_f32 v3, v20, v14, v2
	v_fma_f32 v5, -v21, v14, v19
	v_fma_f32 v6, v20, v14, -v2
	v_fma_f32 v2, -v13, v20, v22
	v_fmac_f32_e32 v3, v21, v13
	v_fmac_f32_e32 v5, v13, v20
	;; [unrolled: 1-line block ×3, first 2 shown]
	ds_write_b64 v66, v[2:3] offset:4320
	ds_write_b64 v4, v[5:6] offset:28080
	ds_read_b64 v[2:3], v66 offset:5400
	ds_read_b64 v[5:6], v4 offset:27000
	global_load_dwordx2 v[13:14], v[9:10], off offset:1528
	s_movk_i32 s5, 0xcd
	s_waitcnt lgkmcnt(0)
	v_add_f32_e32 v19, v2, v5
	v_add_f32_e32 v20, v6, v3
	v_sub_f32_e32 v21, v2, v5
	v_sub_f32_e32 v5, v3, v6
	s_waitcnt vmcnt(4)
	v_fma_f32 v22, v21, v18, v19
	v_fma_f32 v6, v20, v18, v5
	v_fma_f32 v2, -v21, v18, v19
	v_fma_f32 v3, v20, v18, -v5
	v_fma_f32 v5, -v17, v20, v22
	v_fmac_f32_e32 v6, v21, v17
	v_fmac_f32_e32 v2, v17, v20
	;; [unrolled: 1-line block ×3, first 2 shown]
	ds_write_b64 v66, v[5:6] offset:5400
	ds_write_b64 v4, v[2:3] offset:27000
	ds_read_b64 v[2:3], v66 offset:6480
	ds_read_b64 v[5:6], v4 offset:25920
	global_load_dwordx2 v[17:18], v[9:10], off offset:2608
	s_waitcnt lgkmcnt(0)
	v_add_f32_e32 v19, v2, v5
	v_add_f32_e32 v20, v6, v3
	v_sub_f32_e32 v21, v2, v5
	v_sub_f32_e32 v5, v3, v6
	s_waitcnt vmcnt(4)
	v_fma_f32 v22, v21, v16, v19
	v_fma_f32 v6, v20, v16, v5
	v_fma_f32 v2, -v21, v16, v19
	v_fma_f32 v3, v20, v16, -v5
	v_fma_f32 v5, -v15, v20, v22
	v_fmac_f32_e32 v6, v21, v15
	v_fmac_f32_e32 v2, v15, v20
	;; [unrolled: 1-line block ×3, first 2 shown]
	ds_write_b64 v66, v[5:6] offset:6480
	ds_write_b64 v4, v[2:3] offset:25920
	ds_read_b64 v[2:3], v66 offset:7560
	ds_read_b64 v[5:6], v4 offset:24840
	global_load_dwordx2 v[9:10], v[9:10], off offset:3688
	s_waitcnt lgkmcnt(0)
	v_add_f32_e32 v15, v2, v5
	v_add_f32_e32 v16, v6, v3
	v_sub_f32_e32 v19, v2, v5
	v_sub_f32_e32 v2, v3, v6
	s_waitcnt vmcnt(4)
	v_fma_f32 v20, v19, v8, v15
	v_fma_f32 v3, v16, v8, v2
	v_fma_f32 v5, -v19, v8, v15
	v_fma_f32 v6, v16, v8, -v2
	v_fma_f32 v2, -v7, v16, v20
	v_fmac_f32_e32 v3, v19, v7
	v_fmac_f32_e32 v5, v7, v16
	;; [unrolled: 1-line block ×3, first 2 shown]
	ds_write_b64 v66, v[2:3] offset:7560
	ds_write_b64 v4, v[5:6] offset:24840
	ds_read_b64 v[2:3], v66 offset:8640
	ds_read_b64 v[5:6], v4 offset:23760
	s_waitcnt lgkmcnt(0)
	v_add_f32_e32 v7, v2, v5
	v_add_f32_e32 v8, v6, v3
	v_sub_f32_e32 v15, v2, v5
	v_sub_f32_e32 v16, v3, v6
	global_load_dwordx2 v[5:6], v[0:1], off offset:672
	s_waitcnt vmcnt(4)
	v_fma_f32 v2, v15, v12, v7
	v_fma_f32 v3, v8, v12, v16
	v_fma_f32 v2, -v11, v8, v2
	v_fmac_f32_e32 v3, v15, v11
	ds_write_b64 v66, v[2:3] offset:8640
	v_fma_f32 v2, -v15, v12, v7
	v_fma_f32 v3, v8, v12, -v16
	v_fmac_f32_e32 v2, v11, v8
	v_fmac_f32_e32 v3, v15, v11
	ds_write_b64 v4, v[2:3] offset:23760
	ds_read_b64 v[2:3], v66 offset:9720
	ds_read_b64 v[7:8], v4 offset:22680
	s_waitcnt lgkmcnt(0)
	v_add_f32_e32 v11, v2, v7
	v_add_f32_e32 v12, v8, v3
	v_sub_f32_e32 v15, v2, v7
	v_sub_f32_e32 v16, v3, v8
	global_load_dwordx2 v[7:8], v[0:1], off offset:1752
	s_waitcnt vmcnt(4)
	v_fma_f32 v2, v15, v14, v11
	v_fma_f32 v3, v12, v14, v16
	v_fma_f32 v2, -v13, v12, v2
	v_fmac_f32_e32 v3, v15, v13
	ds_write_b64 v66, v[2:3] offset:9720
	v_fma_f32 v2, -v15, v14, v11
	v_fma_f32 v3, v12, v14, -v16
	v_fmac_f32_e32 v2, v13, v12
	v_fmac_f32_e32 v3, v15, v13
	ds_write_b64 v4, v[2:3] offset:22680
	ds_read_b64 v[2:3], v66 offset:10800
	ds_read_b64 v[11:12], v4 offset:21600
	global_load_dwordx2 v[0:1], v[0:1], off offset:2832
	s_waitcnt lgkmcnt(0)
	v_add_f32_e32 v13, v2, v11
	v_add_f32_e32 v14, v12, v3
	v_sub_f32_e32 v11, v2, v11
	v_sub_f32_e32 v12, v3, v12
	s_waitcnt vmcnt(4)
	v_fma_f32 v2, v11, v18, v13
	v_fma_f32 v3, v14, v18, v12
	v_fma_f32 v2, -v17, v14, v2
	v_fmac_f32_e32 v3, v11, v17
	ds_write_b64 v66, v[2:3] offset:10800
	v_fma_f32 v2, -v11, v18, v13
	v_fma_f32 v3, v14, v18, -v12
	v_fmac_f32_e32 v2, v17, v14
	v_fmac_f32_e32 v3, v11, v17
	ds_write_b64 v4, v[2:3] offset:21600
	ds_read_b64 v[2:3], v66 offset:11880
	ds_read_b64 v[11:12], v4 offset:20520
	s_waitcnt lgkmcnt(0)
	v_add_f32_e32 v13, v2, v11
	v_add_f32_e32 v14, v12, v3
	v_sub_f32_e32 v11, v2, v11
	v_sub_f32_e32 v12, v3, v12
	s_waitcnt vmcnt(3)
	v_fma_f32 v2, v11, v10, v13
	v_fma_f32 v3, v14, v10, v12
	v_fma_f32 v2, -v9, v14, v2
	v_fmac_f32_e32 v3, v11, v9
	ds_write_b64 v66, v[2:3] offset:11880
	v_fma_f32 v2, -v11, v10, v13
	v_fma_f32 v3, v14, v10, -v12
	v_fmac_f32_e32 v2, v9, v14
	v_fmac_f32_e32 v3, v11, v9
	ds_write_b64 v4, v[2:3] offset:20520
	ds_read_b64 v[2:3], v66 offset:12960
	ds_read_b64 v[9:10], v4 offset:19440
	;; [unrolled: 18-line block ×4, first 2 shown]
	s_waitcnt lgkmcnt(0)
	v_add_f32_e32 v7, v2, v5
	v_add_f32_e32 v8, v6, v3
	v_sub_f32_e32 v5, v2, v5
	v_sub_f32_e32 v6, v3, v6
	s_waitcnt vmcnt(0)
	v_fma_f32 v2, v5, v1, v7
	v_fma_f32 v3, v8, v1, v6
	v_fma_f32 v2, -v0, v8, v2
	v_fmac_f32_e32 v3, v5, v0
	ds_write_b64 v66, v[2:3] offset:15120
	v_fma_f32 v2, -v5, v1, v7
	v_fma_f32 v3, v8, v1, -v6
	v_fmac_f32_e32 v2, v0, v8
	v_fmac_f32_e32 v3, v5, v0
	ds_write_b64 v4, v[2:3] offset:17280
	s_waitcnt lgkmcnt(0)
	s_barrier
	s_barrier
	ds_read2_b64 v[0:3], v67 offset0:42 offset1:177
	ds_read2_b64 v[8:11], v69 offset0:84 offset1:219
	;; [unrolled: 1-line block ×9, first 2 shown]
	s_waitcnt lgkmcnt(7)
	v_sub_f32_e32 v16, v2, v10
	ds_read2_b64 v[20:23], v66 offset1:135
	s_waitcnt lgkmcnt(6)
	v_sub_f32_e32 v17, v14, v6
	v_add_f32_e32 v80, v16, v17
	v_sub_f32_e32 v16, v3, v11
	v_sub_f32_e32 v17, v15, v7
	v_add_f32_e32 v85, v16, v17
	s_waitcnt lgkmcnt(4)
	v_sub_f32_e32 v16, v36, v44
	s_waitcnt lgkmcnt(2)
	v_sub_f32_e32 v17, v52, v56
	v_add_f32_e32 v86, v16, v17
	v_sub_f32_e32 v16, v37, v45
	v_sub_f32_e32 v17, v53, v57
	v_add_f32_e32 v87, v16, v17
	v_add_f32_e32 v17, v45, v57
	;; [unrolled: 1-line block ×3, first 2 shown]
	s_waitcnt lgkmcnt(1)
	v_fma_f32 v91, -0.5, v17, v49
	v_fma_f32 v88, -0.5, v16, v48
	v_sub_f32_e32 v92, v36, v52
	v_mov_b32_e32 v17, v91
	v_sub_f32_e32 v89, v37, v53
	v_mov_b32_e32 v16, v88
	v_fmac_f32_e32 v17, 0x3f737871, v92
	v_sub_f32_e32 v93, v44, v56
	v_fmac_f32_e32 v16, 0xbf737871, v89
	v_sub_f32_e32 v90, v45, v57
	v_fmac_f32_e32 v17, 0x3f167918, v93
	v_fmac_f32_e32 v16, 0xbf167918, v90
	;; [unrolled: 1-line block ×4, first 2 shown]
	v_mul_f32_e32 v94, 0xbf167918, v17
	v_fmac_f32_e32 v94, 0x3f4f1bbd, v16
	v_mul_f32_e32 v95, 0x3f167918, v16
	s_waitcnt lgkmcnt(0)
	v_add_f32_e32 v16, v22, v2
	v_add_f32_e32 v16, v16, v10
	;; [unrolled: 1-line block ×5, first 2 shown]
	v_fma_f32 v97, -0.5, v16, v22
	v_add_f32_e32 v16, v23, v3
	v_add_f32_e32 v16, v16, v11
	;; [unrolled: 1-line block ×3, first 2 shown]
	v_sub_f32_e32 v103, v2, v14
	v_sub_f32_e32 v105, v10, v6
	;; [unrolled: 1-line block ×4, first 2 shown]
	v_add_f32_e32 v2, v2, v14
	v_add_f32_e32 v101, v16, v15
	;; [unrolled: 1-line block ×4, first 2 shown]
	v_fma_f32 v10, -0.5, v2, v22
	v_add_f32_e32 v2, v3, v15
	v_fma_f32 v102, -0.5, v16, v23
	v_fmac_f32_e32 v23, -0.5, v2
	v_sub_f32_e32 v100, v11, v7
	v_sub_f32_e32 v2, v11, v3
	v_mov_b32_e32 v11, v23
	v_sub_f32_e32 v98, v3, v15
	v_sub_f32_e32 v3, v7, v15
	v_fmac_f32_e32 v11, 0xbf737871, v105
	v_fmac_f32_e32 v23, 0x3f737871, v105
	v_add_f32_e32 v2, v2, v3
	v_fmac_f32_e32 v11, 0x3f167918, v103
	v_fmac_f32_e32 v23, 0xbf167918, v103
	v_mov_b32_e32 v14, v10
	v_fmac_f32_e32 v11, 0x3e9e377a, v2
	v_fmac_f32_e32 v23, 0x3e9e377a, v2
	v_sub_f32_e32 v2, v44, v36
	v_sub_f32_e32 v3, v56, v52
	v_fmac_f32_e32 v14, 0x3f737871, v100
	v_fmac_f32_e32 v10, 0xbf737871, v100
	v_add_f32_e32 v2, v2, v3
	v_add_f32_e32 v3, v36, v52
	v_fmac_f32_e32 v14, 0xbf167918, v98
	v_fmac_f32_e32 v10, 0x3f167918, v98
	v_fma_f32 v3, -0.5, v3, v48
	v_fmac_f32_e32 v14, 0x3e9e377a, v6
	v_fmac_f32_e32 v10, 0x3e9e377a, v6
	v_mov_b32_e32 v6, v3
	v_fmac_f32_e32 v6, 0x3f737871, v90
	v_fmac_f32_e32 v3, 0xbf737871, v90
	;; [unrolled: 1-line block ×6, first 2 shown]
	v_sub_f32_e32 v2, v45, v37
	v_sub_f32_e32 v7, v57, v53
	v_add_f32_e32 v2, v2, v7
	v_add_f32_e32 v7, v37, v53
	v_fma_f32 v7, -0.5, v7, v49
	v_mov_b32_e32 v15, v7
	v_add_f32_e32 v16, v48, v36
	v_fmac_f32_e32 v15, 0xbf737871, v93
	v_fmac_f32_e32 v7, 0x3f737871, v93
	v_add_f32_e32 v16, v16, v44
	v_fmac_f32_e32 v15, 0x3f167918, v92
	v_fmac_f32_e32 v7, 0xbf167918, v92
	;; [unrolled: 3-line block ×3, first 2 shown]
	v_add_f32_e32 v106, v16, v52
	v_add_f32_e32 v16, v49, v37
	v_mul_f32_e32 v22, 0xbf737871, v15
	v_mul_f32_e32 v15, 0x3e9e377a, v15
	;; [unrolled: 1-line block ×4, first 2 shown]
	v_fmac_f32_e32 v91, 0xbf737871, v92
	v_add_f32_e32 v16, v16, v45
	v_fmac_f32_e32 v22, 0x3e9e377a, v6
	v_fmac_f32_e32 v15, 0x3f737871, v6
	;; [unrolled: 1-line block ×6, first 2 shown]
	v_mov_b32_e32 v99, v97
	v_mov_b32_e32 v104, v102
	v_add_f32_e32 v16, v16, v57
	v_add_f32_e32 v2, v14, v22
	;; [unrolled: 1-line block ×5, first 2 shown]
	v_add_u32_e32 v44, 0x2a40, v108
	v_fmac_f32_e32 v97, 0x3f737871, v98
	v_fmac_f32_e32 v102, 0xbf737871, v103
	;; [unrolled: 1-line block ×7, first 2 shown]
	v_add_f32_e32 v107, v16, v53
	ds_read2_b64 v[16:19], v78 offset0:14 offset1:149
	ds_read2_b64 v[32:35], v75 offset0:56 offset1:191
	;; [unrolled: 1-line block ×5, first 2 shown]
	s_waitcnt lgkmcnt(0)
	s_barrier
	ds_write2_b64 v44, v[2:3], v[6:7] offset1:1
	v_fmac_f32_e32 v97, 0x3f167918, v100
	v_fmac_f32_e32 v102, 0xbf167918, v105
	;; [unrolled: 1-line block ×3, first 2 shown]
	v_mul_f32_e32 v44, 0xbf167918, v91
	v_mul_f32_e32 v45, 0xbf4f1bbd, v91
	v_fmac_f32_e32 v99, 0xbf167918, v100
	v_fmac_f32_e32 v104, 0x3f167918, v105
	;; [unrolled: 1-line block ×8, first 2 shown]
	v_sub_f32_e32 v2, v96, v106
	v_sub_f32_e32 v3, v101, v107
	v_add_f32_e32 v6, v97, v44
	v_add_f32_e32 v7, v102, v45
	v_add_u32_e32 v48, 0x2a50, v108
	ds_write2_b64 v48, v[6:7], v[2:3] offset1:1
	v_sub_f32_e32 v2, v99, v94
	v_sub_f32_e32 v3, v104, v95
	;; [unrolled: 1-line block ×4, first 2 shown]
	v_add_u32_e32 v11, 0x2a60, v108
	ds_write2_b64 v11, v[2:3], v[6:7] offset1:1
	v_sub_f32_e32 v2, v97, v44
	v_sub_f32_e32 v3, v102, v45
	;; [unrolled: 1-line block ×4, first 2 shown]
	v_add_u32_e32 v10, 0x2a70, v108
	ds_write2_b64 v10, v[6:7], v[2:3] offset1:1
	v_add_f32_e32 v2, v50, v38
	v_add_f32_e32 v3, v51, v39
	;; [unrolled: 1-line block ×9, first 2 shown]
	v_sub_f32_e32 v2, v32, v40
	v_sub_f32_e32 v3, v24, v28
	v_add_f32_e32 v6, v46, v58
	v_sub_f32_e32 v7, v38, v46
	v_sub_f32_e32 v11, v46, v38
	;; [unrolled: 1-line block ×5, first 2 shown]
	v_add_f32_e32 v52, v2, v3
	v_sub_f32_e32 v2, v33, v41
	v_sub_f32_e32 v3, v25, v29
	v_fma_f32 v14, -0.5, v14, v51
	v_add_f32_e32 v37, v38, v54
	v_sub_f32_e32 v38, v38, v54
	v_add_f32_e32 v53, v2, v3
	v_add_f32_e32 v22, v22, v46
	v_fma_f32 v46, -0.5, v6, v50
	v_mov_b32_e32 v3, v14
	v_sub_f32_e32 v36, v39, v55
	v_mov_b32_e32 v2, v46
	v_fmac_f32_e32 v3, 0x3f737871, v38
	v_sub_f32_e32 v10, v47, v59
	v_sub_f32_e32 v44, v54, v58
	v_fmac_f32_e32 v2, 0xbf737871, v36
	v_fmac_f32_e32 v3, 0x3f167918, v15
	v_add_f32_e32 v44, v7, v44
	v_fmac_f32_e32 v2, 0xbf167918, v10
	v_fmac_f32_e32 v3, 0x3e9e377a, v22
	v_sub_f32_e32 v45, v58, v54
	v_fmac_f32_e32 v2, 0x3e9e377a, v44
	v_mul_f32_e32 v54, 0xbf167918, v3
	v_sub_f32_e32 v23, v47, v39
	v_add_f32_e32 v39, v39, v55
	v_sub_f32_e32 v47, v59, v55
	v_fmac_f32_e32 v54, 0x3f4f1bbd, v2
	v_mul_f32_e32 v55, 0x3f167918, v2
	v_add_f32_e32 v2, v16, v32
	v_add_f32_e32 v2, v2, v40
	v_add_f32_e32 v2, v2, v28
	v_add_f32_e32 v56, v2, v24
	v_add_f32_e32 v2, v40, v28
	v_fma_f32 v57, -0.5, v2, v16
	v_add_f32_e32 v2, v17, v33
	v_add_f32_e32 v2, v2, v41
	;; [unrolled: 1-line block ×7, first 2 shown]
	ds_write2_b64 v109, v[81:82], v[83:84] offset1:1
	v_add_f32_e32 v81, v2, v25
	v_add_f32_e32 v2, v41, v29
	v_fma_f32 v82, -0.5, v2, v17
	v_sub_f32_e32 v58, v33, v25
	v_mov_b32_e32 v59, v57
	v_sub_f32_e32 v83, v32, v24
	v_mov_b32_e32 v84, v82
	v_fmac_f32_e32 v59, 0xbf737871, v58
	v_sub_f32_e32 v80, v41, v29
	v_fmac_f32_e32 v84, 0x3f737871, v83
	v_sub_f32_e32 v85, v40, v28
	v_fmac_f32_e32 v59, 0xbf167918, v80
	v_fmac_f32_e32 v84, 0x3f167918, v85
	v_sub_f32_e32 v28, v28, v24
	v_add_f32_e32 v24, v32, v24
	v_fmac_f32_e32 v55, 0x3f4f1bbd, v3
	v_fmac_f32_e32 v59, 0x3e9e377a, v52
	;; [unrolled: 1-line block ×3, first 2 shown]
	v_fma_f32 v16, -0.5, v24, v16
	v_add_f32_e32 v2, v56, v48
	v_add_f32_e32 v3, v81, v49
	;; [unrolled: 1-line block ×4, first 2 shown]
	v_add_u32_e32 v86, 0x5460, v108
	v_mov_b32_e32 v24, v16
	ds_write2_b64 v86, v[2:3], v[6:7] offset1:1
	v_sub_f32_e32 v7, v40, v32
	v_fmac_f32_e32 v24, 0x3f737871, v80
	v_fmac_f32_e32 v16, 0xbf737871, v80
	v_add_f32_e32 v7, v7, v28
	v_fmac_f32_e32 v24, 0xbf167918, v58
	v_fmac_f32_e32 v16, 0x3f167918, v58
	;; [unrolled: 1-line block ×4, first 2 shown]
	v_add_f32_e32 v7, v33, v25
	v_fmac_f32_e32 v17, -0.5, v7
	v_sub_f32_e32 v7, v41, v33
	v_sub_f32_e32 v25, v29, v25
	v_add_f32_e32 v7, v7, v25
	v_mov_b32_e32 v25, v17
	v_fmac_f32_e32 v51, -0.5, v39
	v_fmac_f32_e32 v25, 0xbf737871, v85
	v_fmac_f32_e32 v17, 0x3f737871, v85
	v_fma_f32 v3, -0.5, v37, v50
	v_mov_b32_e32 v6, v51
	v_fmac_f32_e32 v25, 0x3f167918, v83
	v_fmac_f32_e32 v17, 0xbf167918, v83
	;; [unrolled: 1-line block ×5, first 2 shown]
	v_add_f32_e32 v7, v11, v45
	v_mov_b32_e32 v11, v3
	v_fmac_f32_e32 v6, 0xbf737871, v15
	v_add_f32_e32 v2, v23, v47
	v_fmac_f32_e32 v51, 0xbf167918, v38
	v_fmac_f32_e32 v11, 0x3f737871, v10
	v_fmac_f32_e32 v3, 0xbf737871, v10
	v_fmac_f32_e32 v6, 0x3f167918, v38
	v_fmac_f32_e32 v51, 0x3e9e377a, v2
	v_fmac_f32_e32 v11, 0xbf167918, v36
	v_fmac_f32_e32 v3, 0x3f167918, v36
	v_fmac_f32_e32 v6, 0x3e9e377a, v2
	v_mul_f32_e32 v23, 0xbf737871, v51
	v_mul_f32_e32 v37, 0xbe9e377a, v51
	v_fmac_f32_e32 v11, 0x3e9e377a, v7
	v_fmac_f32_e32 v3, 0x3e9e377a, v7
	v_mul_f32_e32 v28, 0xbf737871, v6
	v_mul_f32_e32 v29, 0x3e9e377a, v6
	v_fmac_f32_e32 v14, 0xbf737871, v38
	v_fmac_f32_e32 v28, 0x3e9e377a, v11
	;; [unrolled: 1-line block ×7, first 2 shown]
	v_add_f32_e32 v2, v24, v28
	v_add_f32_e32 v3, v25, v29
	;; [unrolled: 1-line block ×4, first 2 shown]
	v_add_u32_e32 v11, 0x5470, v108
	v_fmac_f32_e32 v57, 0x3f737871, v58
	v_fmac_f32_e32 v82, 0xbf737871, v83
	;; [unrolled: 1-line block ×4, first 2 shown]
	ds_write2_b64 v11, v[2:3], v[6:7] offset1:1
	v_fmac_f32_e32 v57, 0x3f167918, v80
	v_fmac_f32_e32 v82, 0xbf167918, v85
	;; [unrolled: 1-line block ×3, first 2 shown]
	v_mul_f32_e32 v10, 0xbf167918, v14
	v_mul_f32_e32 v11, 0xbf4f1bbd, v14
	v_fmac_f32_e32 v57, 0x3e9e377a, v52
	v_fmac_f32_e32 v82, 0x3e9e377a, v53
	;; [unrolled: 1-line block ×4, first 2 shown]
	v_sub_f32_e32 v2, v56, v48
	v_sub_f32_e32 v3, v81, v49
	v_add_f32_e32 v6, v57, v10
	v_add_f32_e32 v7, v82, v11
	v_add_u32_e32 v14, 0x5480, v108
	ds_write2_b64 v14, v[6:7], v[2:3] offset1:1
	v_sub_f32_e32 v2, v59, v54
	v_sub_f32_e32 v3, v84, v55
	;; [unrolled: 1-line block ×4, first 2 shown]
	v_add_u32_e32 v14, 0x5490, v108
	ds_write2_b64 v14, v[2:3], v[6:7] offset1:1
	v_add_f32_e32 v2, v20, v0
	v_add_f32_e32 v2, v2, v8
	;; [unrolled: 1-line block ×4, first 2 shown]
	v_sub_f32_e32 v7, v9, v5
	v_sub_f32_e32 v14, v0, v8
	;; [unrolled: 1-line block ×3, first 2 shown]
	v_add_f32_e32 v22, v9, v5
	v_sub_f32_e32 v24, v1, v9
	v_sub_f32_e32 v9, v9, v1
	v_sub_f32_e32 v25, v1, v13
	v_add_f32_e32 v28, v0, v12
	v_sub_f32_e32 v29, v0, v12
	v_add_f32_e32 v0, v1, v13
	v_add_f32_e32 v1, v2, v4
	;; [unrolled: 1-line block ×3, first 2 shown]
	v_sub_f32_e32 v8, v8, v4
	v_add_f32_e32 v2, v3, v5
	v_sub_f32_e32 v3, v12, v4
	v_sub_f32_e32 v4, v4, v12
	v_add_f32_e32 v12, v1, v12
	v_fma_f32 v22, -0.5, v22, v21
	v_fma_f32 v21, -0.5, v0, v21
	v_add_f32_e32 v0, v18, v34
	v_add_f32_e32 v1, v19, v35
	v_sub_f32_e32 v32, v13, v5
	v_sub_f32_e32 v5, v5, v13
	v_add_f32_e32 v13, v2, v13
	v_add_f32_e32 v0, v0, v42
	;; [unrolled: 1-line block ×4, first 2 shown]
	v_sub_f32_e32 v33, v34, v42
	v_add_f32_e32 v38, v43, v31
	v_sub_f32_e32 v40, v35, v43
	v_sub_f32_e32 v44, v26, v30
	;; [unrolled: 1-line block ×3, first 2 shown]
	v_add_f32_e32 v0, v0, v30
	v_add_f32_e32 v1, v1, v31
	;; [unrolled: 1-line block ×5, first 2 shown]
	v_fma_f32 v40, -0.5, v2, v18
	v_fma_f32 v38, -0.5, v38, v19
	;; [unrolled: 1-line block ×4, first 2 shown]
	v_sub_f32_e32 v28, v43, v31
	v_sub_f32_e32 v36, v42, v34
	;; [unrolled: 1-line block ×5, first 2 shown]
	v_add_f32_e32 v43, v34, v26
	v_sub_f32_e32 v34, v34, v26
	v_add_f32_e32 v35, v35, v27
	v_sub_f32_e32 v30, v30, v26
	v_sub_f32_e32 v31, v31, v27
	v_add_f32_e32 v26, v0, v26
	v_add_f32_e32 v27, v1, v27
	v_mov_b32_e32 v0, v40
	v_mov_b32_e32 v1, v38
	v_fmac_f32_e32 v0, 0xbf737871, v42
	v_fmac_f32_e32 v1, 0x3f737871, v34
	;; [unrolled: 1-line block ×4, first 2 shown]
	v_mov_b32_e32 v46, v6
	v_mov_b32_e32 v47, v22
	v_fmac_f32_e32 v0, 0x3e9e377a, v32
	v_fmac_f32_e32 v1, 0x3e9e377a, v33
	;; [unrolled: 1-line block ×4, first 2 shown]
	v_add_f32_e32 v14, v14, v3
	v_mul_f32_e32 v44, 0xbf167918, v1
	v_mul_f32_e32 v45, 0x3f167918, v0
	v_fmac_f32_e32 v46, 0xbf167918, v7
	v_fmac_f32_e32 v47, 0x3f167918, v8
	;; [unrolled: 1-line block ×6, first 2 shown]
	v_add_f32_e32 v0, v12, v26
	v_add_f32_e32 v1, v13, v27
	;; [unrolled: 1-line block ×4, first 2 shown]
	ds_write2_b64 v108, v[0:1], v[2:3] offset1:1
	v_add_f32_e32 v0, v15, v4
	v_mov_b32_e32 v4, v20
	v_fmac_f32_e32 v4, 0x3f737871, v7
	v_fmac_f32_e32 v20, 0xbf737871, v7
	;; [unrolled: 1-line block ×6, first 2 shown]
	v_add_f32_e32 v0, v9, v5
	v_mov_b32_e32 v5, v21
	v_fma_f32 v1, -0.5, v43, v18
	v_fmac_f32_e32 v5, 0xbf737871, v8
	v_fmac_f32_e32 v21, 0x3f737871, v8
	v_mov_b32_e32 v2, v1
	v_fma_f32 v3, -0.5, v35, v19
	v_fmac_f32_e32 v5, 0x3f167918, v29
	v_fmac_f32_e32 v21, 0xbf167918, v29
	;; [unrolled: 1-line block ×4, first 2 shown]
	v_mov_b32_e32 v9, v3
	v_fmac_f32_e32 v5, 0x3e9e377a, v0
	v_fmac_f32_e32 v21, 0x3e9e377a, v0
	v_add_f32_e32 v0, v36, v30
	v_fmac_f32_e32 v2, 0xbf167918, v42
	v_fmac_f32_e32 v1, 0x3f167918, v42
	;; [unrolled: 1-line block ×6, first 2 shown]
	v_add_f32_e32 v0, v41, v31
	v_fmac_f32_e32 v9, 0x3f167918, v34
	v_fmac_f32_e32 v3, 0xbf167918, v34
	;; [unrolled: 1-line block ×7, first 2 shown]
	v_mul_f32_e32 v15, 0xbf737871, v9
	v_mul_f32_e32 v9, 0x3e9e377a, v9
	;; [unrolled: 1-line block ×4, first 2 shown]
	v_fmac_f32_e32 v6, 0x3f737871, v25
	v_fmac_f32_e32 v22, 0xbf737871, v29
	;; [unrolled: 1-line block ×11, first 2 shown]
	v_mul_f32_e32 v7, 0xbf167918, v38
	v_mul_f32_e32 v8, 0xbf4f1bbd, v38
	v_add_f32_e32 v0, v4, v15
	v_add_f32_e32 v1, v5, v9
	;; [unrolled: 1-line block ×4, first 2 shown]
	v_fmac_f32_e32 v6, 0x3e9e377a, v14
	v_fmac_f32_e32 v22, 0x3e9e377a, v24
	;; [unrolled: 1-line block ×4, first 2 shown]
	ds_write2_b64 v108, v[0:1], v[2:3] offset0:2 offset1:3
	v_sub_f32_e32 v0, v12, v26
	v_sub_f32_e32 v1, v13, v27
	v_add_f32_e32 v2, v6, v7
	v_add_f32_e32 v3, v22, v8
	ds_write2_b64 v108, v[2:3], v[0:1] offset0:4 offset1:5
	v_sub_f32_e32 v0, v46, v44
	v_sub_f32_e32 v1, v47, v45
	v_sub_f32_e32 v2, v4, v15
	v_sub_f32_e32 v3, v5, v9
	ds_write2_b64 v108, v[0:1], v[2:3] offset0:6 offset1:7
	v_sub_f32_e32 v0, v20, v18
	v_sub_f32_e32 v1, v21, v19
	v_sub_f32_e32 v2, v6, v7
	v_sub_f32_e32 v3, v22, v8
	;; [unrolled: 5-line block ×3, first 2 shown]
	v_add_u32_e32 v4, 0x54a0, v108
	ds_write2_b64 v4, v[0:1], v[2:3] offset1:1
	v_mul_lo_u16_sdwa v0, v62, s5 dst_sel:DWORD dst_unused:UNUSED_PAD src0_sel:BYTE_0 src1_sel:DWORD
	v_lshrrev_b16_e32 v5, 11, v0
	v_mul_lo_u16_e32 v0, 10, v5
	v_sub_u16_e32 v30, v62, v0
	v_mov_b32_e32 v0, 5
	s_mov_b32 s5, 0xcccd
	v_add_u32_e32 v6, 0x87, v62
	v_lshlrev_b32_sdwa v4, v0, v30 dst_sel:DWORD dst_unused:UNUSED_PAD src0_sel:DWORD src1_sel:BYTE_0
	v_mul_u32_u24_sdwa v7, v6, s5 dst_sel:DWORD dst_unused:UNUSED_PAD src0_sel:WORD_0 src1_sel:DWORD
	s_waitcnt lgkmcnt(0)
	s_barrier
	global_load_dwordx4 v[0:3], v4, s[12:13]
	v_lshrrev_b32_e32 v22, 19, v7
	v_mul_lo_u16_e32 v7, 10, v22
	v_sub_u16_e32 v23, v6, v7
	v_lshlrev_b32_e32 v7, 5, v23
	global_load_dwordx4 v[18:21], v7, s[12:13]
	global_load_dwordx4 v[24:27], v4, s[12:13] offset:16
	global_load_dwordx4 v[31:34], v7, s[12:13] offset:16
	v_add_u32_e32 v4, 0x10e, v62
	v_mul_u32_u24_sdwa v7, v4, s5 dst_sel:DWORD dst_unused:UNUSED_PAD src0_sel:WORD_0 src1_sel:DWORD
	v_lshrrev_b32_e32 v16, 19, v7
	v_mul_lo_u16_e32 v7, 10, v16
	v_add_u32_e32 v8, 0x195, v62
	v_sub_u16_e32 v17, v4, v7
	v_mul_u32_u24_sdwa v9, v8, s5 dst_sel:DWORD dst_unused:UNUSED_PAD src0_sel:WORD_0 src1_sel:DWORD
	v_lshlrev_b32_e32 v7, 5, v17
	v_lshrrev_b32_e32 v12, 19, v9
	global_load_dwordx4 v[35:38], v7, s[12:13]
	v_mul_lo_u16_e32 v9, 10, v12
	v_sub_u16_e32 v13, v8, v9
	v_lshlrev_b32_e32 v9, 5, v13
	global_load_dwordx4 v[39:42], v9, s[12:13]
	global_load_dwordx4 v[89:92], v7, s[12:13] offset:16
	global_load_dwordx4 v[93:96], v9, s[12:13] offset:16
	v_add_u32_e32 v9, 0x21c, v62
	v_mul_u32_u24_sdwa v7, v9, s5 dst_sel:DWORD dst_unused:UNUSED_PAD src0_sel:WORD_0 src1_sel:DWORD
	v_lshrrev_b32_e32 v14, 19, v7
	v_mul_lo_u16_e32 v7, 10, v14
	v_add_u32_e32 v10, 0x2a3, v62
	v_sub_u16_e32 v15, v9, v7
	v_mul_u32_u24_sdwa v7, v10, s5 dst_sel:DWORD dst_unused:UNUSED_PAD src0_sel:WORD_0 src1_sel:DWORD
	v_lshrrev_b32_e32 v7, 19, v7
	v_lshlrev_b32_e32 v28, 5, v15
	v_mul_lo_u16_e32 v11, 10, v7
	ds_read2_b64 v[46:49], v67 offset0:42 offset1:177
	global_load_dwordx4 v[97:100], v28, s[12:13]
	v_sub_u16_e32 v11, v10, v11
	ds_read2_b64 v[53:56], v69 offset0:84 offset1:219
	v_lshlrev_b32_e32 v29, 5, v11
	global_load_dwordx4 v[101:104], v29, s[12:13]
	global_load_dwordx4 v[105:108], v29, s[12:13] offset:16
	v_mul_u32_u24_e32 v22, 0x190, v22
	v_lshlrev_b32_e32 v23, 3, v23
	v_mul_u32_u24_e32 v16, 0x190, v16
	v_lshlrev_b32_e32 v17, 3, v17
	;; [unrolled: 2-line block ×4, first 2 shown]
	v_add3_u32 v7, 0, v7, v11
	s_movk_i32 s5, 0x1c2
	s_waitcnt vmcnt(10) lgkmcnt(1)
	v_mul_f32_e32 v45, v1, v47
	v_mul_f32_e32 v1, v1, v46
	v_fmac_f32_e32 v45, v0, v46
	v_fma_f32 v82, v0, v47, -v1
	s_waitcnt lgkmcnt(0)
	v_mul_f32_e32 v0, v53, v3
	v_mul_f32_e32 v84, v54, v3
	v_fma_f32 v83, v54, v2, -v0
	s_waitcnt vmcnt(9)
	v_mul_f32_e32 v0, v48, v19
	v_fmac_f32_e32 v84, v53, v2
	v_fma_f32 v52, v49, v18, -v0
	global_load_dwordx4 v[0:3], v28, s[12:13] offset:16
	v_mul_f32_e32 v54, v49, v19
	v_fmac_f32_e32 v54, v48, v18
	v_mul_f32_e32 v57, v56, v21
	v_mul_f32_e32 v18, v55, v21
	v_fmac_f32_e32 v57, v55, v20
	v_fma_f32 v56, v56, v20, -v18
	ds_read2_b64 v[18:21], v68 offset0:40 offset1:175
	ds_read2_b64 v[46:49], v63 offset0:62 offset1:197
	s_waitcnt vmcnt(9) lgkmcnt(1)
	v_mul_f32_e32 v88, v19, v27
	v_fmac_f32_e32 v88, v18, v26
	v_mul_f32_e32 v18, v18, v27
	v_fma_f32 v87, v19, v26, -v18
	s_waitcnt vmcnt(8) lgkmcnt(0)
	v_mul_f32_e32 v18, v48, v32
	v_fma_f32 v58, v49, v31, -v18
	v_mul_f32_e32 v81, v21, v34
	v_mul_f32_e32 v18, v20, v34
	v_fmac_f32_e32 v81, v20, v33
	v_fma_f32 v80, v21, v33, -v18
	ds_read2_b64 v[18:21], v77 offset0:98 offset1:233
	v_mul_f32_e32 v85, v47, v25
	v_mul_f32_e32 v25, v46, v25
	v_fmac_f32_e32 v85, v46, v24
	v_fma_f32 v86, v47, v24, -v25
	ds_read2_b64 v[24:27], v75 offset0:56 offset1:191
	v_mul_f32_e32 v59, v49, v32
	s_waitcnt vmcnt(7) lgkmcnt(1)
	v_mul_f32_e32 v49, v19, v38
	v_fmac_f32_e32 v49, v18, v37
	v_mul_f32_e32 v18, v18, v38
	v_fma_f32 v47, v19, v37, -v18
	s_waitcnt vmcnt(6) lgkmcnt(0)
	v_mul_f32_e32 v18, v26, v40
	v_fmac_f32_e32 v59, v48, v31
	v_mul_f32_e32 v48, v25, v36
	v_mul_f32_e32 v38, v27, v40
	v_fma_f32 v37, v27, v39, -v18
	v_mul_f32_e32 v40, v21, v42
	v_mul_f32_e32 v18, v20, v42
	v_fmac_f32_e32 v48, v24, v35
	v_mul_f32_e32 v24, v24, v36
	v_fmac_f32_e32 v38, v26, v39
	v_fmac_f32_e32 v40, v20, v41
	v_fma_f32 v39, v21, v41, -v18
	ds_read2_b64 v[18:21], v76 offset0:54 offset1:189
	v_fma_f32 v46, v25, v35, -v24
	ds_read2_b64 v[24:27], v79 offset0:12 offset1:147
	ds_read2_b64 v[33:36], v71 offset0:112 offset1:247
	s_waitcnt vmcnt(5) lgkmcnt(2)
	v_mul_f32_e32 v55, v19, v92
	v_fmac_f32_e32 v55, v18, v91
	s_waitcnt lgkmcnt(1)
	v_mul_f32_e32 v53, v25, v90
	v_mul_f32_e32 v18, v18, v92
	v_fmac_f32_e32 v53, v24, v89
	v_mul_f32_e32 v24, v24, v90
	v_fma_f32 v51, v19, v91, -v18
	s_waitcnt vmcnt(4)
	v_mul_f32_e32 v42, v27, v94
	v_mul_f32_e32 v18, v26, v94
	v_fma_f32 v50, v25, v89, -v24
	v_fmac_f32_e32 v42, v26, v93
	v_fma_f32 v41, v27, v93, -v18
	ds_read2_b64 v[24:27], v74 offset0:70 offset1:205
	v_mul_f32_e32 v18, v20, v96
	v_fma_f32 v43, v21, v95, -v18
	ds_read2_b64 v[89:92], v70 offset0:68 offset1:203
	v_mul_f32_e32 v44, v21, v96
	s_waitcnt vmcnt(3) lgkmcnt(1)
	v_mul_f32_e32 v18, v24, v98
	v_fma_f32 v28, v25, v97, -v18
	v_mul_f32_e32 v18, v33, v100
	v_mul_f32_e32 v31, v25, v98
	v_fma_f32 v29, v34, v99, -v18
	s_waitcnt vmcnt(2)
	v_mul_f32_e32 v19, v27, v102
	v_mul_f32_e32 v18, v26, v102
	v_fmac_f32_e32 v31, v24, v97
	v_fmac_f32_e32 v19, v26, v101
	v_fma_f32 v18, v27, v101, -v18
	ds_read2_b64 v[24:27], v72 offset0:26 offset1:161
	v_mul_f32_e32 v21, v36, v104
	v_fmac_f32_e32 v44, v20, v95
	v_mul_f32_e32 v32, v34, v100
	v_fmac_f32_e32 v21, v35, v103
	v_mul_f32_e32 v20, v35, v104
	s_waitcnt vmcnt(0) lgkmcnt(0)
	v_mul_f32_e32 v35, v25, v1
	v_mul_f32_e32 v1, v24, v1
	v_fmac_f32_e32 v32, v33, v99
	v_fmac_f32_e32 v35, v24, v0
	v_fma_f32 v33, v25, v0, -v1
	v_mul_f32_e32 v0, v89, v3
	v_fma_f32 v20, v36, v103, -v20
	v_mul_f32_e32 v36, v90, v3
	v_fma_f32 v34, v90, v2, -v0
	v_mul_f32_e32 v0, v26, v106
	v_fmac_f32_e32 v36, v89, v2
	v_fma_f32 v24, v27, v105, -v0
	ds_read2_b64 v[0:3], v66 offset1:135
	v_sub_f32_e32 v89, v45, v84
	v_sub_f32_e32 v90, v88, v85
	v_add_f32_e32 v89, v89, v90
	v_mul_f32_e32 v25, v27, v106
	s_waitcnt lgkmcnt(0)
	v_add_f32_e32 v90, v0, v45
	v_add_f32_e32 v90, v90, v84
	v_fmac_f32_e32 v25, v26, v105
	v_mul_f32_e32 v26, v92, v108
	v_mul_f32_e32 v27, v91, v108
	v_add_f32_e32 v90, v90, v85
	v_fmac_f32_e32 v26, v91, v107
	v_fma_f32 v27, v92, v107, -v27
	v_add_f32_e32 v98, v90, v88
	v_add_f32_e32 v90, v84, v85
	v_sub_f32_e32 v107, v45, v88
	v_sub_f32_e32 v108, v84, v85
	;; [unrolled: 1-line block ×3, first 2 shown]
	v_add_f32_e32 v45, v45, v88
	v_fma_f32 v100, -0.5, v90, v0
	v_sub_f32_e32 v85, v85, v88
	v_fma_f32 v0, -0.5, v45, v0
	v_add_f32_e32 v91, v1, v82
	v_sub_f32_e32 v106, v83, v86
	v_add_f32_e32 v85, v84, v85
	v_mov_b32_e32 v84, v0
	v_add_f32_e32 v91, v91, v83
	v_add_f32_e32 v90, v83, v86
	v_sub_f32_e32 v105, v82, v87
	v_fmac_f32_e32 v84, 0x3f737871, v106
	v_fmac_f32_e32 v0, 0xbf737871, v106
	v_add_f32_e32 v45, v82, v87
	v_add_f32_e32 v91, v91, v86
	v_fma_f32 v101, -0.5, v90, v1
	v_fmac_f32_e32 v84, 0xbf167918, v105
	v_fmac_f32_e32 v0, 0x3f167918, v105
	v_fma_f32 v1, -0.5, v45, v1
	v_add_f32_e32 v99, v91, v87
	v_sub_f32_e32 v90, v82, v83
	v_sub_f32_e32 v91, v87, v86
	v_fmac_f32_e32 v84, 0x3e9e377a, v85
	v_fmac_f32_e32 v0, 0x3e9e377a, v85
	v_mov_b32_e32 v85, v1
	v_add_f32_e32 v104, v90, v91
	v_mul_u32_u24_e32 v90, 0x190, v5
	v_mov_b32_e32 v5, 3
	v_mov_b32_e32 v102, v100
	;; [unrolled: 1-line block ×3, first 2 shown]
	v_sub_f32_e32 v45, v83, v82
	v_sub_f32_e32 v82, v86, v87
	v_fmac_f32_e32 v85, 0xbf737871, v108
	v_fmac_f32_e32 v1, 0x3f737871, v108
	v_lshlrev_b32_sdwa v30, v5, v30 dst_sel:DWORD dst_unused:UNUSED_PAD src0_sel:DWORD src1_sel:BYTE_0
	v_fmac_f32_e32 v102, 0xbf737871, v105
	v_fmac_f32_e32 v103, 0x3f737871, v107
	v_add_f32_e32 v45, v45, v82
	v_fmac_f32_e32 v85, 0x3f167918, v107
	v_fmac_f32_e32 v1, 0xbf167918, v107
	;; [unrolled: 1-line block ×4, first 2 shown]
	v_add3_u32 v30, 0, v90, v30
	v_fmac_f32_e32 v102, 0xbf167918, v106
	v_fmac_f32_e32 v103, 0x3f167918, v108
	;; [unrolled: 1-line block ×8, first 2 shown]
	ds_read2_b64 v[90:93], v78 offset0:14 offset1:149
	ds_read2_b64 v[94:97], v73 offset0:28 offset1:163
	s_waitcnt lgkmcnt(0)
	s_barrier
	ds_write2_b64 v30, v[84:85], v[0:1] offset0:20 offset1:30
	v_fmac_f32_e32 v100, 0x3e9e377a, v89
	v_fmac_f32_e32 v101, 0x3e9e377a, v104
	v_add_f32_e32 v0, v57, v59
	v_add_f32_e32 v1, v54, v81
	ds_write2_b64 v30, v[98:99], v[102:103] offset1:10
	ds_write_b64 v30, v[100:101] offset:320
	v_add_f32_e32 v30, v2, v54
	v_fma_f32 v0, -0.5, v0, v2
	v_fma_f32 v2, -0.5, v1, v2
	v_sub_f32_e32 v1, v57, v54
	v_sub_f32_e32 v45, v59, v81
	v_add_f32_e32 v1, v1, v45
	v_sub_f32_e32 v45, v56, v58
	v_mov_b32_e32 v82, v2
	v_fmac_f32_e32 v82, 0x3f737871, v45
	v_sub_f32_e32 v84, v52, v80
	v_fmac_f32_e32 v2, 0xbf737871, v45
	v_fmac_f32_e32 v82, 0xbf167918, v84
	;; [unrolled: 1-line block ×5, first 2 shown]
	v_add_f32_e32 v1, v56, v58
	v_add_f32_e32 v83, v52, v80
	v_fma_f32 v1, -0.5, v1, v3
	v_add_f32_e32 v85, v3, v52
	v_fmac_f32_e32 v3, -0.5, v83
	v_sub_f32_e32 v83, v56, v52
	v_sub_f32_e32 v86, v58, v80
	v_add_f32_e32 v86, v83, v86
	v_mov_b32_e32 v83, v3
	v_sub_f32_e32 v87, v57, v59
	v_fmac_f32_e32 v83, 0xbf737871, v87
	v_sub_f32_e32 v88, v54, v81
	v_fmac_f32_e32 v3, 0x3f737871, v87
	v_fmac_f32_e32 v83, 0x3f167918, v88
	;; [unrolled: 1-line block ×5, first 2 shown]
	v_add3_u32 v86, 0, v22, v23
	ds_write2_b64 v86, v[82:83], v[2:3] offset0:20 offset1:30
	v_sub_f32_e32 v3, v54, v57
	v_sub_f32_e32 v22, v81, v59
	v_add_f32_e32 v2, v30, v57
	v_add_f32_e32 v30, v3, v22
	v_sub_f32_e32 v22, v52, v56
	v_sub_f32_e32 v23, v80, v58
	v_add_f32_e32 v52, v22, v23
	v_mov_b32_e32 v22, v0
	v_mov_b32_e32 v23, v1
	v_add_f32_e32 v3, v85, v56
	v_fmac_f32_e32 v22, 0xbf737871, v84
	v_fmac_f32_e32 v23, 0x3f737871, v88
	v_add_f32_e32 v2, v2, v59
	v_add_f32_e32 v3, v3, v58
	v_fmac_f32_e32 v22, 0xbf167918, v45
	v_fmac_f32_e32 v23, 0x3f167918, v87
	;; [unrolled: 1-line block ×4, first 2 shown]
	v_add_f32_e32 v2, v2, v81
	v_add_f32_e32 v3, v3, v80
	v_fmac_f32_e32 v22, 0x3e9e377a, v30
	v_fmac_f32_e32 v23, 0x3e9e377a, v52
	v_fmac_f32_e32 v0, 0x3f167918, v45
	v_fmac_f32_e32 v1, 0xbf167918, v87
	ds_write2_b64 v86, v[2:3], v[22:23] offset1:10
	v_fmac_f32_e32 v0, 0x3e9e377a, v30
	v_fmac_f32_e32 v1, 0x3e9e377a, v52
	v_add_f32_e32 v2, v49, v53
	v_add_f32_e32 v3, v47, v50
	ds_write_b64 v86, v[0:1] offset:320
	v_sub_f32_e32 v0, v48, v49
	v_sub_f32_e32 v1, v55, v53
	v_fma_f32 v2, -0.5, v2, v90
	v_fma_f32 v3, -0.5, v3, v91
	v_sub_f32_e32 v23, v46, v47
	v_sub_f32_e32 v30, v51, v50
	v_add_f32_e32 v22, v0, v1
	v_add_f32_e32 v0, v90, v48
	;; [unrolled: 1-line block ×4, first 2 shown]
	v_add3_u32 v30, 0, v16, v17
	v_sub_f32_e32 v45, v46, v51
	v_mov_b32_e32 v16, v2
	v_mov_b32_e32 v17, v3
	v_sub_f32_e32 v54, v48, v55
	v_add_f32_e32 v0, v0, v49
	v_add_f32_e32 v1, v1, v47
	v_fmac_f32_e32 v16, 0xbf737871, v45
	v_sub_f32_e32 v52, v47, v50
	v_fmac_f32_e32 v17, 0x3f737871, v54
	v_sub_f32_e32 v56, v49, v53
	v_add_f32_e32 v0, v0, v53
	v_add_f32_e32 v1, v1, v50
	v_fmac_f32_e32 v16, 0xbf167918, v52
	v_fmac_f32_e32 v17, 0x3f167918, v56
	v_add_f32_e32 v0, v0, v55
	v_add_f32_e32 v1, v1, v51
	v_fmac_f32_e32 v16, 0x3e9e377a, v22
	v_fmac_f32_e32 v17, 0x3e9e377a, v23
	ds_write2_b64 v30, v[0:1], v[16:17] offset1:10
	v_sub_f32_e32 v0, v49, v48
	v_add_f32_e32 v1, v48, v55
	v_sub_f32_e32 v16, v53, v55
	v_add_f32_e32 v17, v0, v16
	v_fma_f32 v0, -0.5, v1, v90
	v_mov_b32_e32 v16, v0
	v_fmac_f32_e32 v16, 0x3f737871, v52
	v_fmac_f32_e32 v0, 0xbf737871, v52
	;; [unrolled: 1-line block ×4, first 2 shown]
	v_add_f32_e32 v1, v46, v51
	v_fmac_f32_e32 v16, 0x3e9e377a, v17
	v_fmac_f32_e32 v0, 0x3e9e377a, v17
	v_fma_f32 v1, -0.5, v1, v91
	v_sub_f32_e32 v17, v47, v46
	v_sub_f32_e32 v46, v50, v51
	v_add_f32_e32 v46, v17, v46
	v_mov_b32_e32 v17, v1
	v_fmac_f32_e32 v17, 0xbf737871, v56
	v_fmac_f32_e32 v1, 0x3f737871, v56
	v_fmac_f32_e32 v17, 0x3f167918, v54
	v_fmac_f32_e32 v1, 0xbf167918, v54
	v_fmac_f32_e32 v2, 0x3f737871, v45
	v_fmac_f32_e32 v3, 0xbf737871, v54
	v_fmac_f32_e32 v17, 0x3e9e377a, v46
	v_fmac_f32_e32 v1, 0x3e9e377a, v46
	v_fmac_f32_e32 v2, 0x3f167918, v52
	v_fmac_f32_e32 v3, 0xbf167918, v56
	ds_write2_b64 v30, v[16:17], v[0:1] offset0:20 offset1:30
	v_fmac_f32_e32 v2, 0x3e9e377a, v22
	v_fmac_f32_e32 v3, 0x3e9e377a, v23
	v_add_f32_e32 v0, v40, v42
	v_add_f32_e32 v1, v38, v44
	ds_write_b64 v30, v[2:3] offset:320
	v_add_f32_e32 v16, v92, v38
	v_fma_f32 v0, -0.5, v0, v92
	v_fma_f32 v92, -0.5, v1, v92
	v_sub_f32_e32 v1, v40, v38
	v_sub_f32_e32 v2, v42, v44
	v_add_f32_e32 v1, v1, v2
	v_sub_f32_e32 v17, v39, v41
	v_mov_b32_e32 v2, v92
	v_fmac_f32_e32 v2, 0x3f737871, v17
	v_sub_f32_e32 v22, v37, v43
	v_fmac_f32_e32 v92, 0xbf737871, v17
	v_fmac_f32_e32 v2, 0xbf167918, v22
	v_fmac_f32_e32 v92, 0x3f167918, v22
	v_fmac_f32_e32 v2, 0x3e9e377a, v1
	v_fmac_f32_e32 v92, 0x3e9e377a, v1
	v_add_f32_e32 v1, v39, v41
	v_add_f32_e32 v3, v37, v43
	v_fma_f32 v1, -0.5, v1, v93
	v_add_f32_e32 v23, v93, v37
	v_fmac_f32_e32 v93, -0.5, v3
	v_sub_f32_e32 v3, v39, v37
	v_sub_f32_e32 v30, v41, v43
	v_add_f32_e32 v30, v3, v30
	v_mov_b32_e32 v3, v93
	v_sub_f32_e32 v45, v40, v42
	v_fmac_f32_e32 v3, 0xbf737871, v45
	v_sub_f32_e32 v46, v38, v44
	v_fmac_f32_e32 v93, 0x3f737871, v45
	v_fmac_f32_e32 v3, 0x3f167918, v46
	;; [unrolled: 1-line block ×5, first 2 shown]
	v_add3_u32 v30, 0, v12, v13
	ds_write2_b64 v30, v[2:3], v[92:93] offset0:20 offset1:30
	v_sub_f32_e32 v3, v38, v40
	v_sub_f32_e32 v12, v44, v42
	v_add_f32_e32 v2, v16, v40
	v_add_f32_e32 v16, v3, v12
	v_sub_f32_e32 v12, v37, v39
	v_sub_f32_e32 v13, v43, v41
	v_add_f32_e32 v3, v23, v39
	v_add_f32_e32 v23, v12, v13
	v_mov_b32_e32 v12, v0
	v_mov_b32_e32 v13, v1
	v_fmac_f32_e32 v12, 0xbf737871, v22
	v_fmac_f32_e32 v13, 0x3f737871, v46
	v_add_f32_e32 v2, v2, v42
	v_add_f32_e32 v3, v3, v41
	v_fmac_f32_e32 v12, 0xbf167918, v17
	v_fmac_f32_e32 v13, 0x3f167918, v45
	;; [unrolled: 1-line block ×4, first 2 shown]
	v_add_f32_e32 v2, v2, v44
	v_add_f32_e32 v3, v3, v43
	v_fmac_f32_e32 v12, 0x3e9e377a, v16
	v_fmac_f32_e32 v13, 0x3e9e377a, v23
	;; [unrolled: 1-line block ×4, first 2 shown]
	ds_write2_b64 v30, v[2:3], v[12:13] offset1:10
	v_fmac_f32_e32 v0, 0x3e9e377a, v16
	v_fmac_f32_e32 v1, 0x3e9e377a, v23
	v_add_f32_e32 v2, v32, v35
	v_add_f32_e32 v3, v29, v33
	v_sub_f32_e32 v12, v28, v29
	v_sub_f32_e32 v13, v34, v33
	ds_write_b64 v30, v[0:1] offset:320
	v_sub_f32_e32 v0, v31, v32
	v_sub_f32_e32 v1, v36, v35
	v_fma_f32 v2, -0.5, v2, v94
	v_fma_f32 v3, -0.5, v3, v95
	v_add_f32_e32 v17, v12, v13
	v_mul_u32_u24_e32 v12, 0x190, v14
	v_lshlrev_b32_e32 v13, 3, v15
	v_add_f32_e32 v16, v0, v1
	v_add_f32_e32 v0, v94, v31
	;; [unrolled: 1-line block ×3, first 2 shown]
	v_add3_u32 v14, 0, v12, v13
	v_sub_f32_e32 v15, v28, v34
	v_mov_b32_e32 v12, v2
	v_mov_b32_e32 v13, v3
	v_sub_f32_e32 v23, v31, v36
	v_add_f32_e32 v0, v0, v32
	v_add_f32_e32 v1, v1, v29
	v_fmac_f32_e32 v12, 0xbf737871, v15
	v_sub_f32_e32 v22, v29, v33
	v_fmac_f32_e32 v13, 0x3f737871, v23
	v_sub_f32_e32 v30, v32, v35
	v_add_f32_e32 v0, v0, v35
	v_add_f32_e32 v1, v1, v33
	v_fmac_f32_e32 v12, 0xbf167918, v22
	v_fmac_f32_e32 v13, 0x3f167918, v30
	v_add_f32_e32 v0, v0, v36
	v_add_f32_e32 v1, v1, v34
	v_fmac_f32_e32 v12, 0x3e9e377a, v16
	v_fmac_f32_e32 v13, 0x3e9e377a, v17
	ds_write2_b64 v14, v[0:1], v[12:13] offset1:10
	v_sub_f32_e32 v0, v32, v31
	v_add_f32_e32 v1, v31, v36
	v_sub_f32_e32 v12, v35, v36
	v_add_f32_e32 v13, v0, v12
	v_fma_f32 v0, -0.5, v1, v94
	v_mov_b32_e32 v12, v0
	v_fmac_f32_e32 v12, 0x3f737871, v22
	v_fmac_f32_e32 v0, 0xbf737871, v22
	v_fmac_f32_e32 v12, 0xbf167918, v15
	v_fmac_f32_e32 v0, 0x3f167918, v15
	v_add_f32_e32 v1, v28, v34
	v_fmac_f32_e32 v12, 0x3e9e377a, v13
	v_fmac_f32_e32 v0, 0x3e9e377a, v13
	v_fma_f32 v1, -0.5, v1, v95
	v_sub_f32_e32 v13, v29, v28
	v_sub_f32_e32 v28, v33, v34
	v_add_f32_e32 v28, v13, v28
	v_mov_b32_e32 v13, v1
	v_fmac_f32_e32 v13, 0xbf737871, v30
	v_fmac_f32_e32 v1, 0x3f737871, v30
	;; [unrolled: 1-line block ×10, first 2 shown]
	ds_write2_b64 v14, v[12:13], v[0:1] offset0:20 offset1:30
	v_fmac_f32_e32 v2, 0x3e9e377a, v16
	v_fmac_f32_e32 v3, 0x3e9e377a, v17
	v_add_f32_e32 v0, v21, v25
	v_add_f32_e32 v1, v19, v26
	ds_write_b64 v14, v[2:3] offset:320
	v_add_f32_e32 v12, v96, v19
	v_fma_f32 v0, -0.5, v0, v96
	v_fma_f32 v96, -0.5, v1, v96
	v_sub_f32_e32 v1, v21, v19
	v_sub_f32_e32 v2, v25, v26
	v_add_f32_e32 v1, v1, v2
	v_sub_f32_e32 v13, v20, v24
	v_mov_b32_e32 v2, v96
	v_fmac_f32_e32 v2, 0x3f737871, v13
	v_sub_f32_e32 v14, v18, v27
	v_fmac_f32_e32 v96, 0xbf737871, v13
	v_fmac_f32_e32 v2, 0xbf167918, v14
	;; [unrolled: 1-line block ×5, first 2 shown]
	v_add_f32_e32 v1, v20, v24
	v_add_f32_e32 v3, v18, v27
	v_fma_f32 v1, -0.5, v1, v97
	v_add_f32_e32 v15, v97, v18
	v_fmac_f32_e32 v97, -0.5, v3
	v_sub_f32_e32 v3, v20, v18
	v_sub_f32_e32 v16, v24, v27
	v_add_f32_e32 v16, v3, v16
	v_mov_b32_e32 v3, v97
	v_sub_f32_e32 v17, v21, v25
	v_fmac_f32_e32 v3, 0xbf737871, v17
	v_sub_f32_e32 v22, v19, v26
	v_fmac_f32_e32 v97, 0x3f737871, v17
	v_fmac_f32_e32 v3, 0x3f167918, v22
	;; [unrolled: 1-line block ×5, first 2 shown]
	ds_write2_b64 v7, v[2:3], v[96:97] offset0:20 offset1:30
	v_sub_f32_e32 v3, v19, v21
	v_sub_f32_e32 v11, v26, v25
	v_add_f32_e32 v2, v12, v21
	v_add_f32_e32 v16, v3, v11
	v_sub_f32_e32 v11, v18, v20
	v_sub_f32_e32 v12, v27, v24
	v_add_f32_e32 v3, v15, v20
	v_add_f32_e32 v15, v11, v12
	v_mov_b32_e32 v11, v0
	v_mov_b32_e32 v12, v1
	v_fmac_f32_e32 v0, 0x3f737871, v14
	v_fmac_f32_e32 v1, 0xbf737871, v22
	;; [unrolled: 1-line block ×6, first 2 shown]
	ds_write_b64 v7, v[0:1] offset:320
	v_mov_b32_e32 v0, 41
	v_add_f32_e32 v2, v2, v25
	v_mul_lo_u16_sdwa v0, v62, v0 dst_sel:DWORD dst_unused:UNUSED_PAD src0_sel:BYTE_0 src1_sel:DWORD
	v_add_f32_e32 v2, v2, v26
	v_lshrrev_b16_e32 v26, 11, v0
	v_add_f32_e32 v3, v3, v24
	v_fmac_f32_e32 v11, 0xbf737871, v14
	v_fmac_f32_e32 v12, 0x3f737871, v22
	v_mul_lo_u16_e32 v0, 50, v26
	v_add_f32_e32 v3, v3, v27
	v_fmac_f32_e32 v11, 0xbf167918, v13
	v_fmac_f32_e32 v12, 0x3f167918, v17
	v_sub_u16_e32 v27, v62, v0
	v_mov_b32_e32 v0, 4
	v_fmac_f32_e32 v11, 0x3e9e377a, v16
	v_fmac_f32_e32 v12, 0x3e9e377a, v15
	v_lshlrev_b32_sdwa v0, v0, v27 dst_sel:DWORD dst_unused:UNUSED_PAD src0_sel:DWORD src1_sel:BYTE_0
	ds_write2_b64 v7, v[2:3], v[11:12] offset1:10
	s_waitcnt lgkmcnt(0)
	s_barrier
	global_load_dwordx4 v[38:41], v0, s[12:13] offset:320
	v_lshrrev_b16_e32 v0, 1, v6
	v_mul_u32_u24_e32 v0, 0x147b, v0
	v_lshrrev_b32_e32 v22, 17, v0
	v_mul_lo_u16_e32 v0, 50, v22
	v_sub_u16_e32 v24, v6, v0
	v_lshlrev_b32_e32 v0, 4, v24
	global_load_dwordx4 v[42:45], v0, s[12:13] offset:320
	v_lshrrev_b16_e32 v0, 1, v4
	v_mul_u32_u24_e32 v1, 0x147b, v0
	v_lshrrev_b32_e32 v23, 17, v1
	v_mul_lo_u16_e32 v1, 50, v23
	v_sub_u16_e32 v25, v4, v1
	v_lshlrev_b32_e32 v1, 4, v25
	;; [unrolled: 7-line block ×4, first 2 shown]
	v_lshrrev_b16_e32 v16, 1, v10
	global_load_dwordx4 v[54:57], v3, s[12:13] offset:320
	v_mul_u32_u24_e32 v3, 0x147b, v16
	v_lshrrev_b32_e32 v28, 17, v3
	v_mul_lo_u16_e32 v3, 50, v28
	v_sub_u16_e32 v29, v10, v3
	v_add_u32_e32 v11, 0x32a, v62
	v_lshlrev_b32_e32 v3, 4, v29
	v_lshrrev_b16_e32 v17, 1, v11
	global_load_dwordx4 v[80:83], v3, s[12:13] offset:320
	v_mul_u32_u24_e32 v3, 0x147b, v17
	v_lshrrev_b32_e32 v30, 17, v3
	v_mul_lo_u16_e32 v3, 50, v30
	v_sub_u16_e32 v31, v11, v3
	v_add_u32_e32 v13, 0x3b1, v62
	v_lshlrev_b32_e32 v3, 4, v31
	v_lshrrev_b16_e32 v15, 1, v13
	global_load_dwordx4 v[88:91], v3, s[12:13] offset:320
	v_mul_u32_u24_e32 v3, 0x147b, v15
	v_lshrrev_b32_e32 v34, 17, v3
	v_mul_lo_u16_e32 v3, 50, v34
	v_sub_u16_e32 v35, v13, v3
	v_lshlrev_b32_e32 v3, 4, v35
	v_add_u32_e32 v12, 0x438, v62
	global_load_dwordx4 v[92:95], v3, s[12:13] offset:320
	v_lshrrev_b16_e32 v3, 1, v12
	v_mul_u32_u24_e32 v7, 0x147b, v3
	v_lshrrev_b32_e32 v32, 17, v7
	v_mul_lo_u16_e32 v7, 50, v32
	v_sub_u16_e32 v33, v12, v7
	v_lshlrev_b32_e32 v7, 4, v33
	v_add_u32_e32 v14, 0x4bf, v62
	global_load_dwordx4 v[100:103], v7, s[12:13] offset:320
	v_lshrrev_b16_e32 v7, 1, v14
	v_mul_u32_u24_e32 v36, 0x147b, v7
	v_lshrrev_b32_e32 v36, 17, v36
	v_mul_lo_u16_e32 v37, 50, v36
	v_sub_u16_e32 v37, v14, v37
	v_lshlrev_b32_e32 v58, 4, v37
	global_load_dwordx4 v[104:107], v58, s[12:13] offset:320
	ds_read2_b64 v[84:87], v74 offset0:70 offset1:205
	ds_read2_b64 v[96:99], v79 offset0:12 offset1:147
	v_lshlrev_b32_sdwa v5, v5, v27 dst_sel:DWORD dst_unused:UNUSED_PAD src0_sel:DWORD src1_sel:BYTE_0
	v_mul_u32_u24_e32 v26, 0x4b0, v26
	v_add3_u32 v5, 0, v26, v5
	v_mul_u32_u24_e32 v22, 0x4b0, v22
	v_lshlrev_b32_e32 v24, 3, v24
	v_add3_u32 v22, 0, v22, v24
	v_mul_u32_u24_e32 v18, 0x4b0, v18
	v_lshlrev_b32_e32 v20, 3, v20
	v_add3_u32 v18, 0, v18, v20
	v_mul_u32_u24_e32 v0, 0xda75, v0
	s_waitcnt vmcnt(9) lgkmcnt(1)
	v_mul_f32_e32 v108, v39, v85
	v_mul_f32_e32 v39, v39, v84
	v_fmac_f32_e32 v108, v38, v84
	v_fma_f32 v84, v38, v85, -v39
	s_waitcnt lgkmcnt(0)
	v_mul_f32_e32 v85, v41, v97
	v_mul_f32_e32 v38, v41, v96
	v_fmac_f32_e32 v85, v40, v96
	v_fma_f32 v96, v40, v97, -v38
	s_waitcnt vmcnt(8)
	v_mul_f32_e32 v97, v87, v43
	v_mul_f32_e32 v38, v86, v43
	v_fmac_f32_e32 v97, v86, v42
	v_fma_f32 v86, v87, v42, -v38
	ds_read2_b64 v[38:41], v69 offset0:84 offset1:219
	v_mul_f32_e32 v87, v99, v45
	v_mul_f32_e32 v42, v98, v45
	v_fmac_f32_e32 v87, v98, v44
	v_fma_f32 v98, v99, v44, -v42
	ds_read2_b64 v[42:45], v72 offset0:26 offset1:161
	s_waitcnt vmcnt(7) lgkmcnt(1)
	v_mul_f32_e32 v99, v39, v47
	v_fmac_f32_e32 v99, v38, v46
	v_mul_f32_e32 v38, v38, v47
	v_fma_f32 v109, v39, v46, -v38
	s_waitcnt lgkmcnt(0)
	v_mul_f32_e32 v38, v42, v49
	v_fma_f32 v111, v43, v48, -v38
	s_waitcnt vmcnt(6)
	v_mul_f32_e32 v112, v41, v51
	v_mul_f32_e32 v38, v40, v51
	;; [unrolled: 1-line block ×3, first 2 shown]
	v_fmac_f32_e32 v112, v40, v50
	v_fma_f32 v113, v41, v50, -v38
	ds_read2_b64 v[38:41], v77 offset0:98 offset1:233
	v_fmac_f32_e32 v110, v42, v48
	v_mul_f32_e32 v114, v45, v53
	v_mul_f32_e32 v42, v44, v53
	v_fmac_f32_e32 v114, v44, v52
	v_fma_f32 v115, v45, v52, -v42
	ds_read2_b64 v[42:45], v68 offset0:40 offset1:175
	s_waitcnt vmcnt(5) lgkmcnt(1)
	v_mul_f32_e32 v116, v39, v55
	v_fmac_f32_e32 v116, v38, v54
	v_mul_f32_e32 v38, v38, v55
	v_fma_f32 v117, v39, v54, -v38
	s_waitcnt lgkmcnt(0)
	v_mul_f32_e32 v38, v42, v57
	v_fma_f32 v119, v43, v56, -v38
	s_waitcnt vmcnt(4)
	v_mul_f32_e32 v120, v41, v81
	v_mul_f32_e32 v38, v40, v81
	v_mul_f32_e32 v118, v43, v57
	v_fmac_f32_e32 v120, v40, v80
	v_fma_f32 v80, v41, v80, -v38
	ds_read2_b64 v[38:41], v71 offset0:112 offset1:247
	v_fmac_f32_e32 v118, v42, v56
	v_mul_f32_e32 v81, v45, v83
	v_mul_f32_e32 v42, v44, v83
	v_fmac_f32_e32 v81, v44, v82
	v_fma_f32 v82, v45, v82, -v42
	ds_read2_b64 v[42:45], v76 offset0:54 offset1:189
	s_waitcnt vmcnt(3) lgkmcnt(1)
	v_mul_f32_e32 v83, v39, v89
	v_fmac_f32_e32 v83, v38, v88
	v_mul_f32_e32 v38, v38, v89
	v_fma_f32 v88, v39, v88, -v38
	s_waitcnt lgkmcnt(0)
	v_mul_f32_e32 v89, v43, v91
	v_mul_f32_e32 v38, v42, v91
	v_fmac_f32_e32 v89, v42, v90
	v_fma_f32 v90, v43, v90, -v38
	s_waitcnt vmcnt(2)
	v_mul_f32_e32 v91, v41, v93
	v_mul_f32_e32 v38, v40, v93
	v_fmac_f32_e32 v91, v40, v92
	v_fma_f32 v92, v41, v92, -v38
	ds_read2_b64 v[38:41], v63 offset0:62 offset1:197
	v_mul_f32_e32 v93, v45, v95
	v_mul_f32_e32 v42, v44, v95
	v_fmac_f32_e32 v93, v44, v94
	v_fma_f32 v94, v45, v94, -v42
	ds_read2_b64 v[42:45], v70 offset0:68 offset1:203
	s_waitcnt vmcnt(1) lgkmcnt(1)
	v_mul_f32_e32 v95, v39, v101
	v_fmac_f32_e32 v95, v38, v100
	v_mul_f32_e32 v38, v38, v101
	v_fma_f32 v100, v39, v100, -v38
	s_waitcnt lgkmcnt(0)
	v_mul_f32_e32 v101, v43, v103
	v_mul_f32_e32 v38, v42, v103
	v_fmac_f32_e32 v101, v42, v102
	v_fma_f32 v102, v43, v102, -v38
	s_waitcnt vmcnt(0)
	v_mul_f32_e32 v103, v41, v105
	v_mul_f32_e32 v38, v40, v105
	v_fmac_f32_e32 v103, v40, v104
	v_fma_f32 v104, v41, v104, -v38
	ds_read2_b64 v[38:41], v66 offset1:135
	v_mul_f32_e32 v105, v45, v107
	v_mul_f32_e32 v42, v44, v107
	v_fmac_f32_e32 v105, v44, v106
	v_fma_f32 v106, v45, v106, -v42
	s_waitcnt lgkmcnt(0)
	v_add_f32_e32 v42, v38, v108
	v_add_f32_e32 v58, v42, v85
	;; [unrolled: 1-line block ×6, first 2 shown]
	v_fma_f32 v38, -0.5, v43, v38
	v_fma_f32 v39, -0.5, v42, v39
	v_sub_f32_e32 v107, v84, v96
	v_sub_f32_e32 v84, v108, v85
	v_mov_b32_e32 v26, v38
	v_mov_b32_e32 v27, v39
	v_fmac_f32_e32 v26, 0xbf5db3d7, v107
	v_fmac_f32_e32 v27, 0x3f5db3d7, v84
	;; [unrolled: 1-line block ×4, first 2 shown]
	ds_read2_b64 v[42:45], v78 offset0:14 offset1:149
	ds_read2_b64 v[46:49], v73 offset0:28 offset1:163
	;; [unrolled: 1-line block ×4, first 2 shown]
	s_waitcnt lgkmcnt(0)
	s_barrier
	ds_write2_b64 v5, v[58:59], v[26:27] offset1:50
	ds_write_b64 v5, v[38:39] offset:800
	v_add_f32_e32 v5, v40, v97
	v_add_f32_e32 v26, v97, v87
	v_add_f32_e32 v38, v86, v98
	v_fma_f32 v40, -0.5, v26, v40
	v_add_f32_e32 v26, v5, v87
	v_add_f32_e32 v5, v41, v86
	v_fmac_f32_e32 v41, -0.5, v38
	v_add_f32_e32 v27, v5, v98
	v_sub_f32_e32 v5, v86, v98
	v_sub_f32_e32 v58, v97, v87
	v_mov_b32_e32 v38, v40
	v_mov_b32_e32 v39, v41
	v_fmac_f32_e32 v38, 0xbf5db3d7, v5
	v_fmac_f32_e32 v39, 0x3f5db3d7, v58
	;; [unrolled: 1-line block ×4, first 2 shown]
	ds_write2_b64 v22, v[26:27], v[38:39] offset1:50
	ds_write_b64 v22, v[40:41] offset:800
	v_add_f32_e32 v5, v42, v99
	v_add_f32_e32 v22, v109, v111
	;; [unrolled: 1-line block ×5, first 2 shown]
	v_fma_f32 v38, -0.5, v24, v42
	v_fma_f32 v39, -0.5, v22, v43
	v_mul_u32_u24_e32 v22, 0x4b0, v23
	v_lshlrev_b32_e32 v23, 3, v25
	v_add_f32_e32 v27, v5, v111
	v_sub_f32_e32 v5, v109, v111
	v_sub_f32_e32 v24, v99, v110
	v_add3_u32 v25, 0, v22, v23
	v_mov_b32_e32 v22, v38
	v_mov_b32_e32 v23, v39
	v_fmac_f32_e32 v22, 0xbf5db3d7, v5
	v_fmac_f32_e32 v23, 0x3f5db3d7, v24
	ds_write2_b64 v25, v[26:27], v[22:23] offset1:50
	v_fmac_f32_e32 v38, 0x3f5db3d7, v5
	v_fmac_f32_e32 v39, 0xbf5db3d7, v24
	v_add_f32_e32 v5, v44, v112
	v_add_f32_e32 v22, v112, v114
	;; [unrolled: 1-line block ×3, first 2 shown]
	v_fma_f32 v44, -0.5, v22, v44
	v_add_f32_e32 v22, v5, v114
	v_add_f32_e32 v5, v45, v113
	v_fmac_f32_e32 v45, -0.5, v24
	ds_write_b64 v25, v[38:39] offset:800
	v_add_f32_e32 v23, v5, v115
	v_sub_f32_e32 v5, v113, v115
	v_sub_f32_e32 v26, v112, v114
	v_mov_b32_e32 v24, v44
	v_mov_b32_e32 v25, v45
	v_fmac_f32_e32 v24, 0xbf5db3d7, v5
	v_fmac_f32_e32 v25, 0x3f5db3d7, v26
	;; [unrolled: 1-line block ×4, first 2 shown]
	ds_write2_b64 v18, v[22:23], v[24:25] offset1:50
	ds_write_b64 v18, v[44:45] offset:800
	v_add_f32_e32 v5, v46, v116
	v_add_f32_e32 v18, v117, v119
	;; [unrolled: 1-line block ×5, first 2 shown]
	v_fma_f32 v24, -0.5, v20, v46
	v_fma_f32 v25, -0.5, v18, v47
	v_mul_u32_u24_e32 v18, 0x4b0, v19
	v_lshlrev_b32_e32 v19, 3, v21
	v_add_f32_e32 v23, v5, v119
	v_sub_f32_e32 v5, v117, v119
	v_sub_f32_e32 v20, v116, v118
	v_add3_u32 v21, 0, v18, v19
	v_mov_b32_e32 v18, v24
	v_mov_b32_e32 v19, v25
	v_fmac_f32_e32 v18, 0xbf5db3d7, v5
	v_fmac_f32_e32 v19, 0x3f5db3d7, v20
	ds_write2_b64 v21, v[22:23], v[18:19] offset1:50
	v_fmac_f32_e32 v24, 0x3f5db3d7, v5
	v_fmac_f32_e32 v25, 0xbf5db3d7, v20
	v_add_f32_e32 v5, v48, v120
	v_add_f32_e32 v18, v120, v81
	;; [unrolled: 1-line block ×3, first 2 shown]
	ds_write_b64 v21, v[24:25] offset:800
	v_fma_f32 v48, -0.5, v18, v48
	v_add_f32_e32 v18, v5, v81
	v_add_f32_e32 v5, v49, v80
	v_fmac_f32_e32 v49, -0.5, v20
	v_mul_u32_u24_e32 v20, 0x4b0, v28
	v_lshlrev_b32_e32 v21, 3, v29
	v_add_f32_e32 v19, v5, v82
	v_sub_f32_e32 v5, v80, v82
	v_sub_f32_e32 v22, v120, v81
	v_add3_u32 v23, 0, v20, v21
	v_mov_b32_e32 v20, v48
	v_mov_b32_e32 v21, v49
	v_fmac_f32_e32 v20, 0xbf5db3d7, v5
	v_fmac_f32_e32 v21, 0x3f5db3d7, v22
	ds_write2_b64 v23, v[18:19], v[20:21] offset1:50
	v_fmac_f32_e32 v48, 0x3f5db3d7, v5
	v_fmac_f32_e32 v49, 0xbf5db3d7, v22
	v_add_f32_e32 v5, v50, v83
	v_add_f32_e32 v21, v88, v90
	;; [unrolled: 1-line block ×3, first 2 shown]
	ds_write_b64 v23, v[48:49] offset:800
	v_add_f32_e32 v18, v5, v89
	v_add_f32_e32 v5, v51, v88
	v_fma_f32 v20, -0.5, v20, v50
	v_fma_f32 v21, -0.5, v21, v51
	v_mul_u32_u24_e32 v22, 0x4b0, v30
	v_lshlrev_b32_e32 v23, 3, v31
	v_add_f32_e32 v19, v5, v90
	v_sub_f32_e32 v5, v88, v90
	v_sub_f32_e32 v24, v83, v89
	v_add3_u32 v25, 0, v22, v23
	v_mov_b32_e32 v22, v20
	v_mov_b32_e32 v23, v21
	v_fmac_f32_e32 v22, 0xbf5db3d7, v5
	v_fmac_f32_e32 v23, 0x3f5db3d7, v24
	;; [unrolled: 1-line block ×4, first 2 shown]
	ds_write2_b64 v25, v[18:19], v[22:23] offset1:50
	ds_write_b64 v25, v[20:21] offset:800
	v_add_f32_e32 v5, v52, v91
	v_add_f32_e32 v18, v91, v93
	;; [unrolled: 1-line block ×3, first 2 shown]
	v_fma_f32 v52, -0.5, v18, v52
	v_add_f32_e32 v18, v5, v93
	v_add_f32_e32 v5, v53, v92
	v_fmac_f32_e32 v53, -0.5, v20
	v_mul_u32_u24_e32 v20, 0x4b0, v34
	v_lshlrev_b32_e32 v21, 3, v35
	v_add_f32_e32 v19, v5, v94
	v_sub_f32_e32 v5, v92, v94
	v_sub_f32_e32 v22, v91, v93
	v_add3_u32 v23, 0, v20, v21
	v_mov_b32_e32 v20, v52
	v_mov_b32_e32 v21, v53
	v_fmac_f32_e32 v20, 0xbf5db3d7, v5
	v_fmac_f32_e32 v21, 0x3f5db3d7, v22
	ds_write2_b64 v23, v[18:19], v[20:21] offset1:50
	v_fmac_f32_e32 v52, 0x3f5db3d7, v5
	v_fmac_f32_e32 v53, 0xbf5db3d7, v22
	v_add_f32_e32 v5, v54, v95
	v_add_f32_e32 v21, v100, v102
	;; [unrolled: 1-line block ×3, first 2 shown]
	ds_write_b64 v23, v[52:53] offset:800
	v_add_f32_e32 v18, v5, v101
	v_add_f32_e32 v5, v55, v100
	v_fma_f32 v20, -0.5, v20, v54
	v_fma_f32 v21, -0.5, v21, v55
	v_mul_u32_u24_e32 v22, 0x4b0, v32
	v_lshlrev_b32_e32 v23, 3, v33
	v_add_f32_e32 v19, v5, v102
	v_sub_f32_e32 v5, v100, v102
	v_sub_f32_e32 v24, v95, v101
	v_add3_u32 v25, 0, v22, v23
	v_mov_b32_e32 v22, v20
	v_mov_b32_e32 v23, v21
	v_fmac_f32_e32 v22, 0xbf5db3d7, v5
	v_fmac_f32_e32 v23, 0x3f5db3d7, v24
	;; [unrolled: 1-line block ×4, first 2 shown]
	ds_write2_b64 v25, v[18:19], v[22:23] offset1:50
	ds_write_b64 v25, v[20:21] offset:800
	v_add_f32_e32 v5, v56, v103
	v_add_f32_e32 v18, v103, v105
	;; [unrolled: 1-line block ×3, first 2 shown]
	v_lshrrev_b32_e32 v24, 22, v0
	v_fma_f32 v56, -0.5, v18, v56
	v_add_f32_e32 v18, v5, v105
	v_add_f32_e32 v5, v57, v104
	v_fmac_f32_e32 v57, -0.5, v20
	v_mul_u32_u24_e32 v20, 0x4b0, v36
	v_lshlrev_b32_e32 v21, 3, v37
	v_mul_lo_u16_e32 v0, 0x96, v24
	v_add_f32_e32 v19, v5, v106
	v_sub_f32_e32 v5, v104, v106
	v_sub_f32_e32 v22, v103, v105
	v_add3_u32 v23, 0, v20, v21
	v_mov_b32_e32 v20, v56
	v_mov_b32_e32 v21, v57
	v_sub_u16_e32 v25, v4, v0
	v_fmac_f32_e32 v20, 0xbf5db3d7, v5
	v_fmac_f32_e32 v21, 0x3f5db3d7, v22
	;; [unrolled: 1-line block ×4, first 2 shown]
	v_lshlrev_b32_e32 v0, 4, v25
	ds_write2_b64 v23, v[18:19], v[20:21] offset1:50
	ds_write_b64 v23, v[56:57] offset:800
	s_waitcnt lgkmcnt(0)
	s_barrier
	global_load_dwordx4 v[30:33], v0, s[12:13] offset:1120
	v_mul_u32_u24_e32 v0, 0xda75, v1
	v_lshrrev_b32_e32 v21, 22, v0
	v_mul_lo_u16_e32 v0, 0x96, v21
	v_sub_u16_e32 v23, v8, v0
	v_lshlrev_b32_e32 v0, 4, v23
	global_load_dwordx4 v[34:37], v0, s[12:13] offset:1120
	v_mul_u32_u24_e32 v0, 0xda75, v2
	v_lshrrev_b32_e32 v20, 22, v0
	v_mul_lo_u16_e32 v0, 0x96, v20
	v_sub_u16_e32 v22, v9, v0
	v_lshlrev_b32_e32 v0, 4, v22
	global_load_dwordx4 v[38:41], v0, s[12:13] offset:1120
	v_mul_u32_u24_e32 v0, 0xda75, v16
	v_lshrrev_b32_e32 v18, 22, v0
	v_mul_lo_u16_e32 v0, 0x96, v18
	v_sub_u16_e32 v19, v10, v0
	v_lshlrev_b32_e32 v0, 4, v19
	global_load_dwordx4 v[42:45], v0, s[12:13] offset:1120
	v_mul_u32_u24_e32 v0, 0xda75, v17
	v_lshrrev_b32_e32 v5, 22, v0
	v_mul_lo_u16_e32 v0, 0x96, v5
	v_sub_u16_e32 v17, v11, v0
	v_lshlrev_b32_e32 v0, 4, v17
	global_load_dwordx4 v[46:49], v0, s[12:13] offset:1120
	v_mul_u32_u24_e32 v0, 0xda75, v15
	v_lshrrev_b32_e32 v26, 22, v0
	v_mul_lo_u16_e32 v0, 0x96, v26
	v_sub_u16_e32 v27, v13, v0
	v_lshlrev_b32_e32 v0, 4, v27
	global_load_dwordx4 v[54:57], v0, s[12:13] offset:1120
	v_mul_u32_u24_e32 v0, 0xda75, v3
	v_lshrrev_b32_e32 v28, 22, v0
	v_mul_lo_u16_e32 v0, 0x96, v28
	v_sub_u16_e32 v29, v12, v0
	v_lshlrev_b32_e32 v0, 4, v29
	global_load_dwordx4 v[84:87], v0, s[12:13] offset:1120
	v_mul_u32_u24_e32 v0, 0xda75, v7
	v_lshrrev_b32_e32 v0, 22, v0
	v_mul_lo_u16_e32 v0, 0x96, v0
	v_sub_u16_e32 v7, v14, v0
	v_lshlrev_b32_e32 v0, 4, v7
	global_load_dwordx4 v[88:91], v0, s[12:13] offset:1120
	v_lshlrev_b32_e32 v0, 1, v62
	v_mov_b32_e32 v1, 0
	v_lshlrev_b64 v[2:3], 3, v[0:1]
	v_mov_b32_e32 v16, s13
	v_add_co_u32_e32 v2, vcc, s12, v2
	v_addc_co_u32_e32 v3, vcc, v16, v3, vcc
	v_add_u32_e32 v15, -15, v62
	v_cmp_gt_u32_e32 vcc, 15, v62
	v_cndmask_b32_e32 v101, v15, v6, vcc
	v_lshlrev_b32_e32 v58, 1, v101
	v_mov_b32_e32 v59, v1
	global_load_dwordx4 v[92:95], v[2:3], off offset:1120
	v_lshlrev_b64 v[58:59], 3, v[58:59]
	ds_read2_b64 v[50:53], v69 offset0:84 offset1:219
	v_add_co_u32_e32 v58, vcc, s12, v58
	v_addc_co_u32_e32 v59, vcc, v16, v59, vcc
	global_load_dwordx4 v[96:99], v[58:59], off offset:1120
	ds_read2_b64 v[80:83], v72 offset0:26 offset1:161
	v_cmp_lt_u32_e32 vcc, 14, v62
	v_mul_u32_u24_e32 v24, 0xe10, v24
	v_lshlrev_b32_e32 v25, 3, v25
	v_mul_u32_u24_e32 v21, 0xe10, v21
	v_lshlrev_b32_e32 v23, 3, v23
	v_add3_u32 v21, 0, v21, v23
	v_mul_u32_u24_e32 v20, 0xe10, v20
	v_mul_u32_u24_e32 v18, 0xe10, v18
	v_lshlrev_b32_e32 v19, 3, v19
	v_mul_u32_u24_e32 v5, 0xe10, v5
	v_lshlrev_b32_e32 v17, 3, v17
	v_add3_u32 v5, 0, v5, v17
	v_lshlrev_b32_e32 v4, 1, v4
	v_lshl_add_u32 v7, v7, 3, 0
	v_lshlrev_b32_e32 v6, 1, v6
	s_waitcnt vmcnt(9) lgkmcnt(1)
	v_mul_f32_e32 v15, v50, v31
	v_fma_f32 v58, v51, v30, -v15
	s_waitcnt lgkmcnt(0)
	v_mul_f32_e32 v59, v81, v33
	v_mul_f32_e32 v15, v80, v33
	;; [unrolled: 1-line block ×3, first 2 shown]
	v_fmac_f32_e32 v59, v80, v32
	v_fma_f32 v80, v81, v32, -v15
	s_waitcnt vmcnt(8)
	v_mul_f32_e32 v15, v52, v35
	v_fmac_f32_e32 v100, v50, v30
	v_mul_f32_e32 v81, v53, v35
	v_fma_f32 v102, v53, v34, -v15
	v_mul_f32_e32 v103, v83, v37
	ds_read2_b64 v[30:33], v77 offset0:98 offset1:233
	v_mul_f32_e32 v15, v82, v37
	v_fmac_f32_e32 v81, v52, v34
	v_fmac_f32_e32 v103, v82, v36
	v_fma_f32 v82, v83, v36, -v15
	ds_read2_b64 v[34:37], v68 offset0:40 offset1:175
	s_waitcnt vmcnt(7) lgkmcnt(1)
	v_mul_f32_e32 v15, v30, v39
	v_fma_f32 v104, v31, v38, -v15
	v_mul_f32_e32 v83, v31, v39
	s_waitcnt vmcnt(6)
	v_mul_f32_e32 v107, v33, v43
	s_waitcnt lgkmcnt(0)
	v_mul_f32_e32 v15, v34, v41
	v_fma_f32 v106, v35, v40, -v15
	v_mul_f32_e32 v15, v32, v43
	v_fmac_f32_e32 v83, v30, v38
	v_mul_f32_e32 v105, v35, v41
	v_fmac_f32_e32 v107, v32, v42
	v_fma_f32 v108, v33, v42, -v15
	v_mul_f32_e32 v109, v37, v45
	ds_read2_b64 v[30:33], v71 offset0:112 offset1:247
	v_mul_f32_e32 v15, v36, v45
	v_fmac_f32_e32 v105, v34, v40
	v_fmac_f32_e32 v109, v36, v44
	v_fma_f32 v110, v37, v44, -v15
	ds_read2_b64 v[34:37], v76 offset0:54 offset1:189
	s_waitcnt vmcnt(5) lgkmcnt(1)
	v_mul_f32_e32 v15, v30, v47
	v_fma_f32 v112, v31, v46, -v15
	v_mul_f32_e32 v111, v31, v47
	s_waitcnt vmcnt(4)
	v_mul_f32_e32 v115, v33, v55
	s_waitcnt lgkmcnt(0)
	v_mul_f32_e32 v15, v34, v49
	v_fma_f32 v114, v35, v48, -v15
	v_mul_f32_e32 v15, v32, v55
	v_fmac_f32_e32 v111, v30, v46
	v_mul_f32_e32 v113, v35, v49
	v_fmac_f32_e32 v115, v32, v54
	v_fma_f32 v54, v33, v54, -v15
	v_mul_f32_e32 v55, v37, v57
	ds_read2_b64 v[30:33], v63 offset0:62 offset1:197
	v_mul_f32_e32 v15, v36, v57
	v_fmac_f32_e32 v113, v34, v48
	v_fmac_f32_e32 v55, v36, v56
	v_fma_f32 v56, v37, v56, -v15
	ds_read2_b64 v[34:37], v70 offset0:68 offset1:203
	s_waitcnt vmcnt(3) lgkmcnt(1)
	v_mul_f32_e32 v57, v31, v85
	v_mul_f32_e32 v15, v30, v85
	v_fmac_f32_e32 v57, v30, v84
	v_fma_f32 v84, v31, v84, -v15
	s_waitcnt lgkmcnt(0)
	v_mul_f32_e32 v85, v35, v87
	v_mul_f32_e32 v15, v34, v87
	v_fmac_f32_e32 v85, v34, v86
	v_fma_f32 v86, v35, v86, -v15
	s_waitcnt vmcnt(2)
	v_mul_f32_e32 v87, v33, v89
	v_mul_f32_e32 v15, v32, v89
	ds_read_b64 v[34:35], v66 offset:10800
	v_fmac_f32_e32 v87, v32, v88
	v_fma_f32 v88, v33, v88, -v15
	ds_read2_b64 v[30:33], v79 offset0:12 offset1:147
	v_mul_f32_e32 v89, v37, v91
	v_mul_f32_e32 v15, v36, v91
	v_fmac_f32_e32 v89, v36, v90
	v_fma_f32 v90, v37, v90, -v15
	s_waitcnt vmcnt(1) lgkmcnt(1)
	v_mul_f32_e32 v15, v93, v34
	v_fma_f32 v37, v92, v35, -v15
	s_waitcnt lgkmcnt(0)
	v_mul_f32_e32 v15, v95, v30
	v_mul_f32_e32 v36, v93, v35
	v_fma_f32 v39, v94, v31, -v15
	v_add_u32_e32 v15, 0x2c00, v66
	v_fmac_f32_e32 v36, v92, v34
	v_mul_f32_e32 v38, v95, v31
	ds_read2_b32 v[34:35], v15 offset0:154 offset1:155
	v_fmac_f32_e32 v38, v94, v30
	s_waitcnt vmcnt(0)
	v_mul_f32_e32 v91, v33, v99
	v_mul_f32_e32 v30, v32, v99
	v_fmac_f32_e32 v91, v32, v98
	v_fma_f32 v92, v33, v98, -v30
	ds_read2_b64 v[30:33], v66 offset1:135
	s_waitcnt lgkmcnt(1)
	v_mul_f32_e32 v93, v35, v97
	v_fmac_f32_e32 v93, v96, v34
	v_mul_f32_e32 v34, v97, v34
	v_fma_f32 v94, v35, v96, -v34
	s_waitcnt lgkmcnt(0)
	v_add_f32_e32 v34, v30, v36
	v_add_f32_e32 v50, v34, v38
	;; [unrolled: 1-line block ×6, first 2 shown]
	v_fma_f32 v30, -0.5, v35, v30
	v_fma_f32 v31, -0.5, v34, v31
	v_sub_f32_e32 v95, v37, v39
	v_sub_f32_e32 v96, v36, v38
	v_mov_b32_e32 v52, v30
	v_mov_b32_e32 v53, v31
	v_fmac_f32_e32 v52, 0xbf5db3d7, v95
	v_fmac_f32_e32 v53, 0x3f5db3d7, v96
	;; [unrolled: 1-line block ×4, first 2 shown]
	ds_read2_b64 v[34:37], v78 offset0:14 offset1:149
	ds_read2_b64 v[38:41], v73 offset0:28 offset1:163
	;; [unrolled: 1-line block ×4, first 2 shown]
	s_waitcnt lgkmcnt(0)
	s_barrier
	ds_write2_b64 v66, v[50:51], v[52:53] offset1:150
	ds_write_b64 v66, v[30:31] offset:2400
	v_add_f32_e32 v31, v93, v91
	v_add_f32_e32 v50, v94, v92
	;; [unrolled: 1-line block ×3, first 2 shown]
	v_fma_f32 v32, -0.5, v31, v32
	v_add_f32_e32 v31, v33, v94
	v_fmac_f32_e32 v33, -0.5, v50
	v_mov_b32_e32 v50, 0xe10
	v_sub_f32_e32 v52, v94, v92
	v_sub_f32_e32 v53, v93, v91
	v_cndmask_b32_e32 v50, 0, v50, vcc
	v_lshlrev_b32_e32 v51, 3, v101
	v_add_f32_e32 v30, v30, v91
	v_add3_u32 v91, 0, v50, v51
	v_mov_b32_e32 v50, v32
	v_mov_b32_e32 v51, v33
	v_fmac_f32_e32 v32, 0x3f5db3d7, v52
	v_fmac_f32_e32 v33, 0xbf5db3d7, v53
	ds_write_b64 v91, v[32:33] offset:2400
	v_add_f32_e32 v33, v58, v80
	v_add_f32_e32 v32, v100, v59
	v_add_f32_e32 v31, v31, v92
	v_fmac_f32_e32 v50, 0xbf5db3d7, v52
	v_fmac_f32_e32 v51, 0x3f5db3d7, v53
	v_fma_f32 v32, -0.5, v32, v34
	v_fma_f32 v33, -0.5, v33, v35
	ds_write2_b64 v91, v[30:31], v[50:51] offset1:150
	v_add_f32_e32 v30, v34, v100
	v_add_f32_e32 v31, v35, v58
	v_sub_f32_e32 v50, v58, v80
	v_sub_f32_e32 v34, v100, v59
	v_add3_u32 v35, 0, v24, v25
	v_mov_b32_e32 v24, v32
	v_mov_b32_e32 v25, v33
	v_add_f32_e32 v30, v30, v59
	v_add_f32_e32 v31, v31, v80
	v_fmac_f32_e32 v24, 0xbf5db3d7, v50
	v_fmac_f32_e32 v25, 0x3f5db3d7, v34
	ds_write2_b64 v35, v[30:31], v[24:25] offset1:150
	v_add_f32_e32 v25, v81, v103
	v_add_f32_e32 v30, v102, v82
	v_fmac_f32_e32 v32, 0x3f5db3d7, v50
	v_fmac_f32_e32 v33, 0xbf5db3d7, v34
	v_add_f32_e32 v24, v36, v81
	v_fma_f32 v36, -0.5, v25, v36
	v_add_f32_e32 v25, v37, v102
	v_fmac_f32_e32 v37, -0.5, v30
	ds_write_b64 v35, v[32:33] offset:2400
	v_sub_f32_e32 v32, v102, v82
	v_sub_f32_e32 v33, v81, v103
	v_mov_b32_e32 v30, v36
	v_mov_b32_e32 v31, v37
	v_add_f32_e32 v24, v24, v103
	v_add_f32_e32 v25, v25, v82
	v_fmac_f32_e32 v30, 0xbf5db3d7, v32
	v_fmac_f32_e32 v31, 0x3f5db3d7, v33
	v_fmac_f32_e32 v36, 0x3f5db3d7, v32
	v_fmac_f32_e32 v37, 0xbf5db3d7, v33
	ds_write2_b64 v21, v[24:25], v[30:31] offset1:150
	ds_write_b64 v21, v[36:37] offset:2400
	v_add_f32_e32 v21, v38, v83
	v_add_f32_e32 v23, v21, v105
	;; [unrolled: 1-line block ×6, first 2 shown]
	v_fma_f32 v30, -0.5, v30, v38
	v_fma_f32 v31, -0.5, v21, v39
	v_lshlrev_b32_e32 v21, 3, v22
	v_sub_f32_e32 v25, v104, v106
	v_sub_f32_e32 v32, v83, v105
	v_add3_u32 v22, 0, v20, v21
	v_mov_b32_e32 v20, v30
	v_mov_b32_e32 v21, v31
	v_fmac_f32_e32 v20, 0xbf5db3d7, v25
	v_fmac_f32_e32 v21, 0x3f5db3d7, v32
	ds_write2_b64 v22, v[23:24], v[20:21] offset1:150
	v_add_f32_e32 v21, v107, v109
	v_add_f32_e32 v23, v108, v110
	v_fmac_f32_e32 v30, 0x3f5db3d7, v25
	v_fmac_f32_e32 v31, 0xbf5db3d7, v32
	v_add_f32_e32 v20, v40, v107
	v_fma_f32 v40, -0.5, v21, v40
	v_add_f32_e32 v21, v41, v108
	v_fmac_f32_e32 v41, -0.5, v23
	ds_write_b64 v22, v[30:31] offset:2400
	v_sub_f32_e32 v22, v108, v110
	v_sub_f32_e32 v23, v107, v109
	v_add3_u32 v24, 0, v18, v19
	v_mov_b32_e32 v18, v40
	v_mov_b32_e32 v19, v41
	v_add_f32_e32 v20, v20, v109
	v_add_f32_e32 v21, v21, v110
	v_fmac_f32_e32 v18, 0xbf5db3d7, v22
	v_fmac_f32_e32 v19, 0x3f5db3d7, v23
	ds_write2_b64 v24, v[20:21], v[18:19] offset1:150
	v_add_f32_e32 v21, v112, v114
	v_add_f32_e32 v20, v111, v113
	v_fmac_f32_e32 v40, 0x3f5db3d7, v22
	v_fmac_f32_e32 v41, 0xbf5db3d7, v23
	v_fma_f32 v20, -0.5, v20, v42
	v_fma_f32 v21, -0.5, v21, v43
	ds_write_b64 v24, v[40:41] offset:2400
	v_add_f32_e32 v18, v42, v111
	v_add_f32_e32 v19, v43, v112
	v_sub_f32_e32 v24, v112, v114
	v_sub_f32_e32 v25, v111, v113
	v_mov_b32_e32 v22, v20
	v_mov_b32_e32 v23, v21
	v_add_f32_e32 v18, v18, v113
	v_add_f32_e32 v19, v19, v114
	v_fmac_f32_e32 v22, 0xbf5db3d7, v24
	v_fmac_f32_e32 v23, 0x3f5db3d7, v25
	;; [unrolled: 1-line block ×4, first 2 shown]
	ds_write2_b64 v5, v[18:19], v[22:23] offset1:150
	ds_write_b64 v5, v[20:21] offset:2400
	v_add_f32_e32 v5, v44, v115
	v_add_f32_e32 v17, v115, v55
	;; [unrolled: 1-line block ×3, first 2 shown]
	v_fma_f32 v44, -0.5, v17, v44
	v_add_f32_e32 v17, v5, v55
	v_add_f32_e32 v5, v45, v54
	v_fmac_f32_e32 v45, -0.5, v19
	v_mul_u32_u24_e32 v19, 0xe10, v26
	v_lshlrev_b32_e32 v20, 3, v27
	v_add_f32_e32 v18, v5, v56
	v_sub_f32_e32 v5, v54, v56
	v_sub_f32_e32 v21, v115, v55
	v_add3_u32 v22, 0, v19, v20
	v_mov_b32_e32 v19, v44
	v_mov_b32_e32 v20, v45
	v_fmac_f32_e32 v19, 0xbf5db3d7, v5
	v_fmac_f32_e32 v20, 0x3f5db3d7, v21
	ds_write2_b64 v22, v[17:18], v[19:20] offset1:150
	v_fmac_f32_e32 v44, 0x3f5db3d7, v5
	v_fmac_f32_e32 v45, 0xbf5db3d7, v21
	v_add_f32_e32 v5, v46, v57
	v_add_f32_e32 v20, v84, v86
	;; [unrolled: 1-line block ×3, first 2 shown]
	ds_write_b64 v22, v[44:45] offset:2400
	v_add_f32_e32 v17, v5, v85
	v_add_f32_e32 v5, v47, v84
	v_fma_f32 v19, -0.5, v19, v46
	v_fma_f32 v20, -0.5, v20, v47
	v_mul_u32_u24_e32 v21, 0xe10, v28
	v_lshlrev_b32_e32 v22, 3, v29
	v_add_f32_e32 v18, v5, v86
	v_sub_f32_e32 v5, v84, v86
	v_sub_f32_e32 v23, v57, v85
	v_add3_u32 v24, 0, v21, v22
	v_mov_b32_e32 v21, v19
	v_mov_b32_e32 v22, v20
	v_fmac_f32_e32 v21, 0xbf5db3d7, v5
	v_fmac_f32_e32 v22, 0x3f5db3d7, v23
	ds_write2_b64 v24, v[17:18], v[21:22] offset1:150
	v_fmac_f32_e32 v19, 0x3f5db3d7, v5
	v_fmac_f32_e32 v20, 0xbf5db3d7, v23
	v_add_f32_e32 v5, v48, v87
	v_add_f32_e32 v17, v87, v89
	ds_write_b64 v24, v[19:20] offset:2400
	v_fma_f32 v48, -0.5, v17, v48
	v_add_f32_e32 v17, v5, v89
	v_add_f32_e32 v5, v49, v88
	;; [unrolled: 1-line block ×4, first 2 shown]
	v_sub_f32_e32 v5, v88, v90
	v_fmac_f32_e32 v49, -0.5, v19
	v_mov_b32_e32 v19, v48
	v_fmac_f32_e32 v19, 0xbf5db3d7, v5
	v_fmac_f32_e32 v48, 0x3f5db3d7, v5
	v_mov_b32_e32 v5, v1
	v_lshlrev_b64 v[4:5], 3, v[4:5]
	v_sub_f32_e32 v21, v87, v89
	v_add_co_u32_e32 v4, vcc, s12, v4
	v_mov_b32_e32 v20, v49
	v_fmac_f32_e32 v49, 0xbf5db3d7, v21
	v_addc_co_u32_e32 v5, vcc, v16, v5, vcc
	v_fmac_f32_e32 v20, 0x3f5db3d7, v21
	v_add_u32_e32 v22, 0x7000, v7
	ds_write_b64 v7, v[48:49] offset:31200
	v_subrev_u32_e32 v7, 45, v62
	v_cmp_gt_u32_e32 vcc, 45, v62
	ds_write2_b64 v22, v[17:18], v[19:20] offset0:16 offset1:166
	v_cndmask_b32_e32 v17, v7, v8, vcc
	v_lshlrev_b32_e32 v18, 1, v17
	v_mov_b32_e32 v19, v1
	v_lshlrev_b64 v[18:19], 3, v[18:19]
	s_waitcnt lgkmcnt(0)
	s_barrier
	global_load_dwordx4 v[22:25], v[4:5], off offset:3520
	v_add_co_u32_e32 v18, vcc, s12, v18
	v_addc_co_u32_e32 v19, vcc, v16, v19, vcc
	global_load_dwordx4 v[26:29], v[18:19], off offset:3520
	v_add_u32_e32 v18, 0xb4, v0
	v_mov_b32_e32 v19, v1
	v_lshlrev_b64 v[18:19], 3, v[18:19]
	v_add_u32_e32 v0, 0x1c2, v0
	v_add_co_u32_e32 v18, vcc, s12, v18
	v_addc_co_u32_e32 v19, vcc, v16, v19, vcc
	global_load_dwordx4 v[30:33], v[18:19], off offset:3520
	v_lshlrev_b64 v[18:19], 3, v[0:1]
	v_add_u32_e32 v112, 0x1c00, v66
	v_add_co_u32_e32 v18, vcc, s12, v18
	v_addc_co_u32_e32 v19, vcc, v16, v19, vcc
	global_load_dwordx4 v[34:37], v[18:19], off offset:3520
	v_mul_u32_u24_sdwa v18, v11, s6 dst_sel:DWORD dst_unused:UNUSED_PAD src0_sel:WORD_0 src1_sel:DWORD
	v_mul_lo_u16_sdwa v0, v18, s5 dst_sel:DWORD dst_unused:UNUSED_PAD src0_sel:BYTE_3 src1_sel:DWORD
	v_sub_u16_e32 v19, v11, v0
	v_lshlrev_b32_e32 v0, 4, v19
	global_load_dwordx4 v[38:41], v0, s[12:13] offset:3520
	v_mul_u32_u24_sdwa v0, v13, s6 dst_sel:DWORD dst_unused:UNUSED_PAD src0_sel:WORD_0 src1_sel:DWORD
	v_mul_lo_u16_sdwa v0, v0, s5 dst_sel:DWORD dst_unused:UNUSED_PAD src0_sel:BYTE_3 src1_sel:DWORD
	v_sub_u16_e32 v0, v13, v0
	v_lshlrev_b32_e32 v7, 4, v0
	global_load_dwordx4 v[42:45], v7, s[12:13] offset:3520
	;; [unrolled: 5-line block ×4, first 2 shown]
	v_mov_b32_e32 v7, v1
	ds_read2_b64 v[54:57], v69 offset0:84 offset1:219
	ds_read2_b64 v[80:83], v72 offset0:26 offset1:161
	global_load_dwordx4 v[84:87], v[2:3], off offset:3520
	v_lshlrev_b64 v[6:7], 3, v[6:7]
	v_lshlrev_b32_e32 v17, 3, v17
	v_add_co_u32_e32 v6, vcc, s12, v6
	v_addc_co_u32_e32 v7, vcc, v16, v7, vcc
	global_load_dwordx4 v[88:91], v[6:7], off offset:3520
	v_cmp_lt_u32_e32 vcc, 44, v62
	s_movk_i32 s5, 0x2a30
	v_lshl_add_u32 v0, v0, 3, 0
	s_waitcnt vmcnt(9) lgkmcnt(1)
	v_mul_f32_e32 v58, v55, v23
	v_mul_f32_e32 v23, v54, v23
	v_fmac_f32_e32 v58, v54, v22
	v_fma_f32 v54, v55, v22, -v23
	s_waitcnt lgkmcnt(0)
	v_mul_f32_e32 v55, v81, v25
	v_mul_f32_e32 v22, v80, v25
	v_fmac_f32_e32 v55, v80, v24
	v_fma_f32 v59, v81, v24, -v22
	s_waitcnt vmcnt(8)
	v_mul_f32_e32 v80, v57, v27
	v_mul_f32_e32 v22, v56, v27
	v_fmac_f32_e32 v80, v56, v26
	v_fma_f32 v56, v57, v26, -v22
	ds_read2_b64 v[22:25], v77 offset0:98 offset1:233
	v_mul_f32_e32 v57, v83, v29
	v_mul_f32_e32 v26, v82, v29
	v_fmac_f32_e32 v57, v82, v28
	v_fma_f32 v81, v83, v28, -v26
	ds_read2_b64 v[26:29], v68 offset0:40 offset1:175
	s_waitcnt vmcnt(7) lgkmcnt(1)
	v_mul_f32_e32 v82, v23, v31
	v_fmac_f32_e32 v82, v22, v30
	v_mul_f32_e32 v22, v22, v31
	v_fma_f32 v83, v23, v30, -v22
	s_waitcnt lgkmcnt(0)
	v_mul_f32_e32 v22, v26, v33
	v_fma_f32 v93, v27, v32, -v22
	s_waitcnt vmcnt(6)
	v_mul_f32_e32 v94, v25, v35
	v_mul_f32_e32 v22, v24, v35
	;; [unrolled: 1-line block ×3, first 2 shown]
	v_fmac_f32_e32 v94, v24, v34
	v_fma_f32 v95, v25, v34, -v22
	ds_read2_b64 v[22:25], v71 offset0:112 offset1:247
	v_fmac_f32_e32 v92, v26, v32
	v_mul_f32_e32 v96, v29, v37
	v_mul_f32_e32 v26, v28, v37
	v_fmac_f32_e32 v96, v28, v36
	v_fma_f32 v97, v29, v36, -v26
	ds_read2_b64 v[26:29], v76 offset0:54 offset1:189
	s_waitcnt vmcnt(5) lgkmcnt(1)
	v_mul_f32_e32 v98, v23, v39
	v_fmac_f32_e32 v98, v22, v38
	v_mul_f32_e32 v22, v22, v39
	v_fma_f32 v99, v23, v38, -v22
	s_waitcnt lgkmcnt(0)
	v_mul_f32_e32 v22, v26, v41
	v_fma_f32 v101, v27, v40, -v22
	s_waitcnt vmcnt(4)
	v_mul_f32_e32 v102, v25, v43
	v_mul_f32_e32 v22, v24, v43
	;; [unrolled: 1-line block ×3, first 2 shown]
	v_fmac_f32_e32 v102, v24, v42
	v_fma_f32 v103, v25, v42, -v22
	ds_read2_b64 v[22:25], v63 offset0:62 offset1:197
	v_fmac_f32_e32 v100, v26, v40
	v_mul_f32_e32 v104, v29, v45
	v_mul_f32_e32 v26, v28, v45
	v_fmac_f32_e32 v104, v28, v44
	v_fma_f32 v105, v29, v44, -v26
	ds_read2_b64 v[26:29], v70 offset0:68 offset1:203
	s_waitcnt vmcnt(3) lgkmcnt(1)
	v_mul_f32_e32 v106, v23, v47
	v_fmac_f32_e32 v106, v22, v46
	v_mul_f32_e32 v22, v22, v47
	v_fma_f32 v107, v23, v46, -v22
	s_waitcnt lgkmcnt(0)
	v_mul_f32_e32 v108, v27, v49
	v_mul_f32_e32 v22, v26, v49
	v_fmac_f32_e32 v108, v26, v48
	v_fma_f32 v48, v27, v48, -v22
	s_waitcnt vmcnt(2)
	v_mul_f32_e32 v49, v25, v51
	v_mul_f32_e32 v22, v24, v51
	ds_read_b64 v[26:27], v66 offset:10800
	v_fmac_f32_e32 v49, v24, v50
	v_fma_f32 v50, v25, v50, -v22
	v_mul_f32_e32 v51, v29, v53
	v_mul_f32_e32 v22, v28, v53
	v_fmac_f32_e32 v51, v28, v52
	v_fma_f32 v52, v29, v52, -v22
	ds_read2_b64 v[22:25], v79 offset0:12 offset1:147
	s_waitcnt vmcnt(1) lgkmcnt(1)
	v_mul_f32_e32 v53, v85, v27
	v_fmac_f32_e32 v53, v84, v26
	v_mul_f32_e32 v26, v85, v26
	v_fma_f32 v84, v84, v27, -v26
	s_waitcnt lgkmcnt(0)
	v_mul_f32_e32 v85, v87, v23
	ds_read2_b32 v[26:27], v15 offset0:154 offset1:155
	v_fmac_f32_e32 v85, v86, v22
	v_mul_f32_e32 v22, v87, v22
	v_fma_f32 v86, v86, v23, -v22
	s_waitcnt vmcnt(0)
	v_mul_f32_e32 v87, v25, v91
	v_mul_f32_e32 v22, v24, v91
	v_fmac_f32_e32 v87, v24, v90
	v_fma_f32 v90, v25, v90, -v22
	ds_read2_b64 v[22:25], v66 offset1:135
	s_waitcnt lgkmcnt(1)
	v_mul_f32_e32 v28, v27, v89
	v_fmac_f32_e32 v28, v88, v26
	v_mul_f32_e32 v26, v89, v26
	v_fma_f32 v26, v27, v88, -v26
	v_add_f32_e32 v27, v53, v85
	s_waitcnt lgkmcnt(0)
	v_fma_f32 v42, -0.5, v27, v22
	v_add_f32_e32 v27, v84, v86
	v_fma_f32 v43, -0.5, v27, v23
	v_add_f32_e32 v27, v28, v87
	v_add_f32_e32 v88, v24, v28
	v_fma_f32 v24, -0.5, v27, v24
	v_add_f32_e32 v27, v26, v90
	v_add_f32_e32 v89, v25, v26
	v_fmac_f32_e32 v25, -0.5, v27
	v_sub_f32_e32 v91, v84, v86
	v_sub_f32_e32 v109, v53, v85
	v_sub_f32_e32 v110, v26, v90
	v_sub_f32_e32 v111, v28, v87
	v_mov_b32_e32 v44, v42
	v_fmac_f32_e32 v42, 0x3f5db3d7, v91
	v_mov_b32_e32 v45, v43
	v_fmac_f32_e32 v43, 0xbf5db3d7, v109
	;; [unrolled: 2-line block ×4, first 2 shown]
	ds_read2_b64 v[26:29], v78 offset0:14 offset1:149
	ds_read2_b64 v[30:33], v73 offset0:28 offset1:163
	;; [unrolled: 1-line block ×4, first 2 shown]
	v_add_f32_e32 v22, v22, v53
	v_add_f32_e32 v23, v23, v84
	s_waitcnt lgkmcnt(0)
	s_barrier
	ds_write2_b64 v112, v[42:43], v[24:25] offset0:4 offset1:139
	v_add_f32_e32 v22, v22, v85
	v_add_f32_e32 v23, v23, v86
	;; [unrolled: 1-line block ×4, first 2 shown]
	ds_write2_b64 v66, v[22:23], v[24:25] offset1:135
	v_add_f32_e32 v22, v26, v58
	v_add_f32_e32 v23, v27, v54
	v_fmac_f32_e32 v44, 0xbf5db3d7, v91
	v_fmac_f32_e32 v45, 0x3f5db3d7, v109
	v_add_f32_e32 v22, v22, v55
	v_add_f32_e32 v23, v23, v59
	ds_write2_b64 v78, v[22:23], v[44:45] offset0:14 offset1:194
	v_add_f32_e32 v23, v54, v59
	v_add_f32_e32 v22, v58, v55
	v_sub_f32_e32 v42, v54, v59
	v_fma_f32 v22, -0.5, v22, v26
	v_fma_f32 v23, -0.5, v23, v27
	v_sub_f32_e32 v26, v58, v55
	v_mov_b32_e32 v24, v22
	v_mov_b32_e32 v25, v23
	v_fmac_f32_e32 v22, 0x3f5db3d7, v42
	v_fmac_f32_e32 v23, 0xbf5db3d7, v26
	;; [unrolled: 1-line block ×6, first 2 shown]
	ds_write_b64 v66, v[22:23] offset:9360
	v_add_f32_e32 v22, v80, v57
	ds_write2_b64 v73, v[46:47], v[24:25] offset0:73 offset1:208
	v_add_f32_e32 v24, v28, v80
	v_fma_f32 v28, -0.5, v22, v28
	v_add_f32_e32 v22, v56, v81
	v_add_f32_e32 v25, v29, v56
	v_fmac_f32_e32 v29, -0.5, v22
	v_mov_b32_e32 v22, 0x2a30
	v_cndmask_b32_e32 v22, 0, v22, vcc
	v_add3_u32 v17, 0, v22, v17
	v_sub_f32_e32 v26, v56, v81
	v_mov_b32_e32 v22, v28
	v_sub_f32_e32 v27, v80, v57
	v_mov_b32_e32 v23, v29
	v_fmac_f32_e32 v28, 0x3f5db3d7, v26
	v_fmac_f32_e32 v29, 0xbf5db3d7, v27
	v_add_f32_e32 v24, v24, v57
	v_add_f32_e32 v25, v25, v81
	v_fmac_f32_e32 v22, 0xbf5db3d7, v26
	v_fmac_f32_e32 v23, 0x3f5db3d7, v27
	ds_write_b64 v17, v[28:29] offset:7200
	ds_write_b64 v17, v[24:25]
	ds_write_b64 v17, v[22:23] offset:3600
	v_add_f32_e32 v17, v82, v92
	v_fma_f32 v22, -0.5, v17, v30
	v_add_f32_e32 v17, v83, v93
	v_add_f32_e32 v24, v94, v96
	v_fma_f32 v23, -0.5, v17, v31
	v_add_f32_e32 v17, v32, v94
	v_fma_f32 v32, -0.5, v24, v32
	v_add_f32_e32 v24, v95, v97
	v_add_f32_e32 v29, v33, v95
	v_fmac_f32_e32 v33, -0.5, v24
	v_sub_f32_e32 v42, v83, v93
	v_sub_f32_e32 v43, v82, v92
	;; [unrolled: 1-line block ×4, first 2 shown]
	v_mov_b32_e32 v24, v22
	v_fmac_f32_e32 v22, 0x3f5db3d7, v42
	v_mov_b32_e32 v25, v23
	v_fmac_f32_e32 v23, 0xbf5db3d7, v43
	;; [unrolled: 2-line block ×4, first 2 shown]
	v_add_u32_e32 v28, 0x4800, v66
	ds_write2_b64 v28, v[22:23], v[32:33] offset0:36 offset1:171
	v_add_f32_e32 v22, v30, v82
	v_add_f32_e32 v23, v31, v83
	;; [unrolled: 1-line block ×7, first 2 shown]
	ds_write2_b64 v15, v[22:23], v[28:29] offset0:32 offset1:167
	v_add_f32_e32 v22, v17, v100
	v_add_f32_e32 v17, v35, v99
	;; [unrolled: 1-line block ×3, first 2 shown]
	v_mul_u32_u24_sdwa v17, v18, s5 dst_sel:DWORD dst_unused:UNUSED_PAD src0_sel:BYTE_3 src1_sel:DWORD
	v_lshlrev_b32_e32 v18, 3, v19
	v_fmac_f32_e32 v24, 0xbf5db3d7, v42
	v_fmac_f32_e32 v25, 0x3f5db3d7, v43
	;; [unrolled: 1-line block ×4, first 2 shown]
	v_add3_u32 v19, 0, v17, v18
	v_add_f32_e32 v18, v99, v101
	v_add_f32_e32 v17, v98, v100
	ds_write2_b64 v77, v[24:25], v[26:27] offset0:98 offset1:233
	v_sub_f32_e32 v24, v99, v101
	v_fma_f32 v17, -0.5, v17, v34
	v_fma_f32 v18, -0.5, v18, v35
	v_sub_f32_e32 v25, v98, v100
	ds_write_b64 v19, v[22:23]
	v_mov_b32_e32 v22, v17
	v_mov_b32_e32 v23, v18
	v_fmac_f32_e32 v17, 0x3f5db3d7, v24
	v_fmac_f32_e32 v18, 0xbf5db3d7, v25
	v_fmac_f32_e32 v22, 0xbf5db3d7, v24
	v_fmac_f32_e32 v23, 0x3f5db3d7, v25
	ds_write_b64 v19, v[17:18] offset:7200
	v_add_f32_e32 v17, v102, v104
	ds_write_b64 v19, v[22:23] offset:3600
	v_add_f32_e32 v26, v36, v102
	v_fma_f32 v36, -0.5, v17, v36
	v_add_f32_e32 v17, v103, v105
	v_add_f32_e32 v19, v106, v108
	;; [unrolled: 1-line block ×3, first 2 shown]
	v_fmac_f32_e32 v37, -0.5, v17
	v_fma_f32 v22, -0.5, v19, v38
	v_add_f32_e32 v19, v107, v48
	v_sub_f32_e32 v28, v103, v105
	v_mov_b32_e32 v17, v36
	v_sub_f32_e32 v29, v102, v104
	v_mov_b32_e32 v18, v37
	v_fma_f32 v23, -0.5, v19, v39
	v_sub_f32_e32 v30, v107, v48
	v_sub_f32_e32 v31, v106, v108
	v_fmac_f32_e32 v36, 0x3f5db3d7, v28
	v_fmac_f32_e32 v37, 0xbf5db3d7, v29
	v_mov_b32_e32 v24, v22
	v_fmac_f32_e32 v22, 0x3f5db3d7, v30
	v_mov_b32_e32 v25, v23
	v_fmac_f32_e32 v23, 0xbf5db3d7, v31
	v_lshl_add_u32 v32, v20, 3, 0
	v_add_f32_e32 v34, v38, v106
	v_add_f32_e32 v35, v39, v107
	v_fmac_f32_e32 v17, 0xbf5db3d7, v28
	v_fmac_f32_e32 v18, 0x3f5db3d7, v29
	ds_write_b64 v0, v[36:37] offset:28800
	ds_write_b64 v32, v[22:23] offset:28800
	v_add_f32_e32 v23, v40, v49
	v_add_f32_e32 v33, v41, v50
	v_lshl_add_u32 v38, v21, 3, 0
	v_add_f32_e32 v21, v26, v104
	v_add_f32_e32 v22, v27, v105
	ds_write_b64 v0, v[17:18] offset:25200
	v_add_f32_e32 v17, v34, v108
	v_add_f32_e32 v18, v35, v48
	;; [unrolled: 1-line block ×3, first 2 shown]
	ds_write_b64 v0, v[21:22] offset:21600
	ds_write_b64 v32, v[17:18] offset:21600
	v_add_f32_e32 v17, v23, v51
	v_add_f32_e32 v18, v33, v52
	v_lshlrev_b32_e32 v0, 1, v8
	v_fma_f32 v40, -0.5, v19, v40
	v_add_f32_e32 v19, v50, v52
	ds_write_b64 v38, v[17:18] offset:21600
	v_add_co_u32_e32 v4, vcc, s4, v4
	v_lshlrev_b64 v[17:18], 3, v[0:1]
	v_fmac_f32_e32 v41, -0.5, v19
	v_addc_co_u32_e32 v5, vcc, 0, v5, vcc
	v_sub_f32_e32 v36, v50, v52
	v_mov_b32_e32 v19, v40
	v_sub_f32_e32 v37, v49, v51
	v_mov_b32_e32 v20, v41
	v_add_co_u32_e32 v0, vcc, s12, v17
	v_fmac_f32_e32 v40, 0x3f5db3d7, v36
	v_fmac_f32_e32 v41, 0xbf5db3d7, v37
	v_fmac_f32_e32 v24, 0xbf5db3d7, v30
	v_fmac_f32_e32 v25, 0x3f5db3d7, v31
	v_fmac_f32_e32 v19, 0xbf5db3d7, v36
	v_fmac_f32_e32 v20, 0x3f5db3d7, v37
	v_addc_co_u32_e32 v8, vcc, v16, v18, vcc
	ds_write_b64 v38, v[40:41] offset:28800
	ds_write_b64 v32, v[24:25] offset:25200
	;; [unrolled: 1-line block ×3, first 2 shown]
	s_waitcnt lgkmcnt(0)
	s_barrier
	global_load_dwordx4 v[17:20], v[4:5], off offset:2528
	v_add_co_u32_e32 v4, vcc, s4, v0
	v_addc_co_u32_e32 v5, vcc, 0, v8, vcc
	v_lshlrev_b32_e32 v0, 1, v9
	global_load_dwordx4 v[21:24], v[4:5], off offset:2528
	v_lshlrev_b64 v[4:5], 3, v[0:1]
	v_add_co_u32_e32 v0, vcc, s12, v4
	v_addc_co_u32_e32 v5, vcc, v16, v5, vcc
	v_add_co_u32_e32 v4, vcc, s4, v0
	v_lshlrev_b32_e32 v0, 1, v10
	v_lshlrev_b64 v[8:9], 3, v[0:1]
	v_addc_co_u32_e32 v5, vcc, 0, v5, vcc
	v_add_co_u32_e32 v0, vcc, s12, v8
	v_addc_co_u32_e32 v9, vcc, v16, v9, vcc
	v_add_co_u32_e32 v8, vcc, s4, v0
	v_lshlrev_b32_e32 v0, 1, v11
	v_addc_co_u32_e32 v9, vcc, 0, v9, vcc
	global_load_dwordx4 v[25:28], v[4:5], off offset:2528
	global_load_dwordx4 v[29:32], v[8:9], off offset:2528
	v_lshlrev_b64 v[4:5], 3, v[0:1]
	ds_read2_b64 v[45:48], v69 offset0:84 offset1:219
	v_add_co_u32_e32 v0, vcc, s12, v4
	v_addc_co_u32_e32 v5, vcc, v16, v5, vcc
	v_add_co_u32_e32 v4, vcc, s4, v0
	v_lshlrev_b32_e32 v0, 1, v13
	v_lshlrev_b64 v[8:9], 3, v[0:1]
	v_addc_co_u32_e32 v5, vcc, 0, v5, vcc
	v_add_co_u32_e32 v0, vcc, s12, v8
	v_addc_co_u32_e32 v13, vcc, v16, v9, vcc
	global_load_dwordx4 v[8:11], v[4:5], off offset:2528
	v_add_co_u32_e32 v4, vcc, s4, v0
	v_addc_co_u32_e32 v5, vcc, 0, v13, vcc
	v_lshlrev_b32_e32 v0, 1, v12
	global_load_dwordx4 v[33:36], v[4:5], off offset:2528
	v_lshlrev_b64 v[4:5], 3, v[0:1]
	v_lshlrev_b32_e32 v0, 1, v14
	v_add_co_u32_e32 v12, vcc, s12, v4
	v_addc_co_u32_e32 v13, vcc, v16, v5, vcc
	v_lshlrev_b64 v[4:5], 3, v[0:1]
	v_add_co_u32_e32 v12, vcc, s4, v12
	v_addc_co_u32_e32 v13, vcc, 0, v13, vcc
	v_add_co_u32_e32 v0, vcc, s12, v4
	global_load_dwordx4 v[37:40], v[12:13], off offset:2528
	v_addc_co_u32_e32 v5, vcc, v16, v5, vcc
	v_add_co_u32_e32 v4, vcc, s4, v0
	v_addc_co_u32_e32 v5, vcc, 0, v5, vcc
	global_load_dwordx4 v[41:44], v[4:5], off offset:2528
	v_add_co_u32_e32 v2, vcc, s4, v2
	v_addc_co_u32_e32 v3, vcc, 0, v3, vcc
	global_load_dwordx4 v[2:5], v[2:3], off offset:2528
	;; [unrolled: 3-line block ×3, first 2 shown]
	ds_read2_b64 v[49:52], v72 offset0:26 offset1:161
	s_waitcnt vmcnt(9) lgkmcnt(1)
	v_mul_f32_e32 v0, v46, v18
	v_mul_f32_e32 v6, v45, v18
	v_fmac_f32_e32 v0, v45, v17
	v_fma_f32 v45, v46, v17, -v6
	s_waitcnt lgkmcnt(0)
	v_mul_f32_e32 v46, v50, v20
	v_mul_f32_e32 v6, v49, v20
	v_fmac_f32_e32 v46, v49, v19
	v_fma_f32 v49, v50, v19, -v6
	s_waitcnt vmcnt(8)
	v_mul_f32_e32 v50, v48, v22
	v_mul_f32_e32 v6, v47, v22
	v_fmac_f32_e32 v50, v47, v21
	v_fma_f32 v47, v48, v21, -v6
	v_mul_f32_e32 v48, v52, v24
	ds_read2_b64 v[16:19], v77 offset0:98 offset1:233
	v_mul_f32_e32 v6, v51, v24
	v_fmac_f32_e32 v48, v51, v23
	v_fma_f32 v51, v52, v23, -v6
	ds_read2_b64 v[20:23], v68 offset0:40 offset1:175
	s_waitcnt vmcnt(7) lgkmcnt(1)
	v_mul_f32_e32 v6, v16, v26
	v_fma_f32 v57, v17, v25, -v6
	s_waitcnt lgkmcnt(0)
	v_mul_f32_e32 v6, v20, v28
	v_mul_f32_e32 v52, v17, v26
	v_mul_f32_e32 v58, v21, v28
	v_fma_f32 v28, v21, v27, -v6
	s_waitcnt vmcnt(6)
	v_mul_f32_e32 v59, v19, v30
	v_mul_f32_e32 v6, v18, v30
	v_fmac_f32_e32 v52, v16, v25
	v_fmac_f32_e32 v59, v18, v29
	v_fma_f32 v29, v19, v29, -v6
	v_mul_f32_e32 v30, v23, v32
	ds_read2_b64 v[16:19], v71 offset0:112 offset1:247
	v_mul_f32_e32 v6, v22, v32
	v_fmac_f32_e32 v58, v20, v27
	v_fmac_f32_e32 v30, v22, v31
	v_fma_f32 v31, v23, v31, -v6
	ds_read2_b64 v[20:23], v76 offset0:54 offset1:189
	s_waitcnt vmcnt(5) lgkmcnt(1)
	v_mul_f32_e32 v6, v16, v9
	v_fma_f32 v80, v17, v8, -v6
	v_mul_f32_e32 v32, v17, v9
	v_fmac_f32_e32 v32, v16, v8
	s_waitcnt lgkmcnt(0)
	v_mul_f32_e32 v6, v20, v11
	v_fma_f32 v82, v21, v10, -v6
	s_waitcnt vmcnt(4)
	v_mul_f32_e32 v83, v19, v34
	v_mul_f32_e32 v6, v18, v34
	;; [unrolled: 1-line block ×3, first 2 shown]
	v_fmac_f32_e32 v83, v18, v33
	v_fma_f32 v33, v19, v33, -v6
	ds_read2_b64 v[6:9], v63 offset0:62 offset1:197
	v_fmac_f32_e32 v81, v20, v10
	v_mul_f32_e32 v34, v23, v36
	v_mul_f32_e32 v10, v22, v36
	v_fmac_f32_e32 v34, v22, v35
	v_fma_f32 v35, v23, v35, -v10
	ds_read2_b64 v[10:13], v70 offset0:68 offset1:203
	s_waitcnt vmcnt(3) lgkmcnt(1)
	v_mul_f32_e32 v36, v7, v38
	v_fmac_f32_e32 v36, v6, v37
	v_mul_f32_e32 v6, v6, v38
	v_fma_f32 v37, v7, v37, -v6
	s_waitcnt lgkmcnt(0)
	v_mul_f32_e32 v38, v11, v40
	v_mul_f32_e32 v6, v10, v40
	v_fmac_f32_e32 v38, v10, v39
	v_fma_f32 v39, v11, v39, -v6
	s_waitcnt vmcnt(2)
	v_mul_f32_e32 v40, v9, v42
	v_mul_f32_e32 v6, v8, v42
	v_fmac_f32_e32 v40, v8, v41
	v_fma_f32 v41, v9, v41, -v6
	v_mul_f32_e32 v42, v13, v44
	ds_read_b64 v[10:11], v66 offset:10800
	v_mul_f32_e32 v6, v12, v44
	v_fmac_f32_e32 v42, v12, v43
	v_fma_f32 v43, v13, v43, -v6
	ds_read2_b64 v[6:9], v79 offset0:12 offset1:147
	s_waitcnt vmcnt(1) lgkmcnt(1)
	v_mul_f32_e32 v44, v3, v11
	v_mul_f32_e32 v3, v3, v10
	v_fmac_f32_e32 v44, v2, v10
	v_fma_f32 v84, v2, v11, -v3
	s_waitcnt lgkmcnt(0)
	v_mul_f32_e32 v85, v5, v7
	v_mul_f32_e32 v2, v5, v6
	v_fmac_f32_e32 v85, v4, v6
	v_fma_f32 v86, v4, v7, -v2
	ds_read2_b32 v[6:7], v15 offset0:154 offset1:155
	s_waitcnt vmcnt(0)
	v_mul_f32_e32 v87, v9, v56
	v_mul_f32_e32 v2, v8, v56
	v_fmac_f32_e32 v87, v8, v55
	v_fma_f32 v55, v9, v55, -v2
	ds_read2_b64 v[2:5], v66 offset1:135
	s_waitcnt lgkmcnt(1)
	v_mul_f32_e32 v8, v7, v54
	v_fmac_f32_e32 v8, v53, v6
	v_mul_f32_e32 v6, v54, v6
	v_fma_f32 v6, v7, v53, -v6
	v_add_f32_e32 v7, v44, v85
	s_waitcnt lgkmcnt(0)
	v_fma_f32 v22, -0.5, v7, v2
	v_add_f32_e32 v7, v84, v86
	v_fma_f32 v23, -0.5, v7, v3
	v_add_f32_e32 v7, v8, v87
	v_add_f32_e32 v53, v4, v8
	v_fma_f32 v4, -0.5, v7, v4
	v_add_f32_e32 v7, v6, v55
	v_add_f32_e32 v54, v5, v6
	v_fmac_f32_e32 v5, -0.5, v7
	v_sub_f32_e32 v56, v84, v86
	v_sub_f32_e32 v88, v44, v85
	;; [unrolled: 1-line block ×4, first 2 shown]
	v_mov_b32_e32 v24, v22
	v_fmac_f32_e32 v22, 0x3f5db3d7, v56
	v_mov_b32_e32 v25, v23
	v_fmac_f32_e32 v23, 0xbf5db3d7, v88
	;; [unrolled: 2-line block ×4, first 2 shown]
	v_add_f32_e32 v2, v2, v44
	v_add_f32_e32 v3, v3, v84
	ds_read2_b64 v[6:9], v78 offset0:14 offset1:149
	ds_read2_b64 v[10:13], v73 offset0:28 offset1:163
	ds_read2_b64 v[14:17], v67 offset0:42 offset1:177
	ds_read2_b64 v[18:21], v75 offset0:56 offset1:191
	s_waitcnt lgkmcnt(0)
	s_barrier
	ds_write2_b64 v79, v[22:23], v[4:5] offset0:12 offset1:147
	v_add_f32_e32 v2, v2, v85
	v_add_f32_e32 v3, v3, v86
	v_add_f32_e32 v4, v53, v87
	v_add_f32_e32 v5, v54, v55
	ds_write2_b64 v66, v[2:3], v[4:5] offset1:135
	v_fmac_f32_e32 v24, 0xbf5db3d7, v56
	v_fmac_f32_e32 v25, 0x3f5db3d7, v88
	v_fmac_f32_e32 v26, 0xbf5db3d7, v89
	v_fmac_f32_e32 v27, 0x3f5db3d7, v90
	v_add_f32_e32 v4, v50, v48
	ds_write2_b64 v74, v[24:25], v[26:27] offset0:70 offset1:205
	v_add_f32_e32 v2, v0, v46
	v_add_f32_e32 v3, v45, v49
	;; [unrolled: 1-line block ×3, first 2 shown]
	v_fma_f32 v8, -0.5, v4, v8
	v_add_f32_e32 v4, v47, v51
	v_fma_f32 v2, -0.5, v2, v6
	v_fma_f32 v3, -0.5, v3, v7
	v_add_f32_e32 v25, v9, v47
	v_fmac_f32_e32 v9, -0.5, v4
	v_sub_f32_e32 v26, v45, v49
	v_sub_f32_e32 v27, v0, v46
	;; [unrolled: 1-line block ×4, first 2 shown]
	v_mov_b32_e32 v4, v2
	v_fmac_f32_e32 v2, 0x3f5db3d7, v26
	v_mov_b32_e32 v5, v3
	v_fmac_f32_e32 v3, 0xbf5db3d7, v27
	;; [unrolled: 2-line block ×4, first 2 shown]
	ds_write2_b64 v72, v[2:3], v[8:9] offset0:26 offset1:161
	v_add_f32_e32 v0, v6, v0
	v_add_f32_e32 v3, v7, v45
	v_add_f32_e32 v2, v0, v46
	v_add_f32_e32 v3, v3, v49
	v_add_f32_e32 v6, v24, v48
	v_add_f32_e32 v7, v25, v51
	v_fmac_f32_e32 v4, 0xbf5db3d7, v26
	v_fmac_f32_e32 v5, 0x3f5db3d7, v27
	v_fmac_f32_e32 v22, 0xbf5db3d7, v44
	v_fmac_f32_e32 v23, 0x3f5db3d7, v47
	v_add_f32_e32 v0, v52, v58
	ds_write2_b64 v78, v[2:3], v[6:7] offset0:14 offset1:149
	ds_write2_b64 v69, v[4:5], v[22:23] offset0:84 offset1:219
	v_fma_f32 v2, -0.5, v0, v10
	v_add_f32_e32 v0, v57, v28
	v_add_f32_e32 v4, v59, v30
	v_fma_f32 v3, -0.5, v0, v11
	v_add_f32_e32 v0, v12, v59
	v_fma_f32 v12, -0.5, v4, v12
	v_add_f32_e32 v4, v29, v31
	v_add_f32_e32 v9, v13, v29
	v_fmac_f32_e32 v13, -0.5, v4
	v_sub_f32_e32 v22, v57, v28
	v_sub_f32_e32 v23, v52, v58
	;; [unrolled: 1-line block ×4, first 2 shown]
	v_mov_b32_e32 v4, v2
	v_fmac_f32_e32 v2, 0x3f5db3d7, v22
	v_mov_b32_e32 v5, v3
	v_fmac_f32_e32 v3, 0xbf5db3d7, v23
	;; [unrolled: 2-line block ×4, first 2 shown]
	ds_write2_b64 v68, v[2:3], v[12:13] offset0:40 offset1:175
	v_add_f32_e32 v2, v10, v52
	v_add_f32_e32 v3, v11, v57
	;; [unrolled: 1-line block ×6, first 2 shown]
	v_fmac_f32_e32 v4, 0xbf5db3d7, v22
	v_fmac_f32_e32 v5, 0x3f5db3d7, v23
	v_fmac_f32_e32 v6, 0xbf5db3d7, v24
	v_fmac_f32_e32 v7, 0x3f5db3d7, v25
	v_add_f32_e32 v0, v32, v81
	ds_write2_b64 v73, v[2:3], v[8:9] offset0:28 offset1:163
	ds_write2_b64 v77, v[4:5], v[6:7] offset0:98 offset1:233
	v_fma_f32 v2, -0.5, v0, v14
	v_add_f32_e32 v0, v80, v82
	v_add_f32_e32 v4, v83, v34
	v_fma_f32 v3, -0.5, v0, v15
	v_add_f32_e32 v0, v16, v83
	v_fma_f32 v16, -0.5, v4, v16
	v_add_f32_e32 v4, v33, v35
	v_add_f32_e32 v9, v17, v33
	v_fmac_f32_e32 v17, -0.5, v4
	v_sub_f32_e32 v10, v80, v82
	v_sub_f32_e32 v11, v32, v81
	;; [unrolled: 1-line block ×4, first 2 shown]
	v_mov_b32_e32 v4, v2
	v_fmac_f32_e32 v2, 0x3f5db3d7, v10
	v_mov_b32_e32 v5, v3
	v_fmac_f32_e32 v3, 0xbf5db3d7, v11
	;; [unrolled: 2-line block ×4, first 2 shown]
	ds_write2_b64 v76, v[2:3], v[16:17] offset0:54 offset1:189
	v_add_f32_e32 v2, v14, v32
	v_add_f32_e32 v3, v15, v80
	;; [unrolled: 1-line block ×7, first 2 shown]
	ds_write2_b64 v67, v[2:3], v[8:9] offset0:42 offset1:177
	v_add_f32_e32 v2, v0, v38
	v_add_f32_e32 v0, v19, v37
	v_fmac_f32_e32 v4, 0xbf5db3d7, v10
	v_fmac_f32_e32 v5, 0x3f5db3d7, v11
	;; [unrolled: 1-line block ×4, first 2 shown]
	v_add_f32_e32 v3, v0, v39
	v_add_f32_e32 v0, v20, v40
	ds_write2_b64 v71, v[4:5], v[6:7] offset0:112 offset1:247
	v_add_f32_e32 v4, v0, v42
	v_add_f32_e32 v0, v21, v41
	;; [unrolled: 1-line block ×4, first 2 shown]
	ds_write2_b64 v75, v[2:3], v[4:5] offset0:56 offset1:191
	v_fma_f32 v2, -0.5, v0, v18
	v_sub_f32_e32 v0, v37, v39
	v_mov_b32_e32 v4, v2
	v_fmac_f32_e32 v4, 0xbf5db3d7, v0
	v_fmac_f32_e32 v2, 0x3f5db3d7, v0
	v_add_f32_e32 v0, v37, v39
	v_fma_f32 v3, -0.5, v0, v19
	v_sub_f32_e32 v0, v36, v38
	v_mov_b32_e32 v5, v3
	v_fmac_f32_e32 v5, 0x3f5db3d7, v0
	v_fmac_f32_e32 v3, 0xbf5db3d7, v0
	v_add_f32_e32 v0, v40, v42
	;; [unrolled: 6-line block ×3, first 2 shown]
	v_fmac_f32_e32 v21, -0.5, v0
	v_sub_f32_e32 v0, v40, v42
	v_mov_b32_e32 v7, v21
	v_fmac_f32_e32 v7, 0x3f5db3d7, v0
	v_fmac_f32_e32 v21, 0xbf5db3d7, v0
	ds_write2_b64 v63, v[4:5], v[6:7] offset0:62 offset1:197
	ds_write2_b64 v70, v[2:3], v[20:21] offset0:68 offset1:203
	s_waitcnt lgkmcnt(0)
	s_barrier
	s_and_saveexec_b64 s[4:5], s[0:1]
	s_cbranch_execz .LBB0_21
; %bb.20:
	v_mul_lo_u32 v0, s3, v64
	v_mul_lo_u32 v2, s2, v65
	v_mad_u64_u32 v[6:7], s[0:1], s2, v64, 0
	v_lshl_add_u32 v8, v62, 3, 0
	v_mov_b32_e32 v63, v1
	v_add3_u32 v7, v7, v2, v0
	v_lshlrev_b64 v[6:7], 3, v[6:7]
	v_mov_b32_e32 v0, s11
	v_add_co_u32_e32 v9, vcc, s10, v6
	v_addc_co_u32_e32 v0, vcc, v0, v7, vcc
	v_lshlrev_b64 v[6:7], 3, v[60:61]
	ds_read2_b64 v[2:5], v8 offset1:135
	v_add_co_u32_e32 v9, vcc, v9, v6
	v_addc_co_u32_e32 v10, vcc, v0, v7, vcc
	v_lshlrev_b64 v[6:7], 3, v[62:63]
	v_add_u32_e32 v0, 0x87, v62
	v_add_co_u32_e32 v6, vcc, v9, v6
	v_addc_co_u32_e32 v7, vcc, v10, v7, vcc
	s_waitcnt lgkmcnt(0)
	global_store_dwordx2 v[6:7], v[2:3], off
	v_lshlrev_b64 v[2:3], 3, v[0:1]
	v_add_u32_e32 v0, 0x10e, v62
	v_add_co_u32_e32 v2, vcc, v9, v2
	v_addc_co_u32_e32 v3, vcc, v10, v3, vcc
	global_store_dwordx2 v[2:3], v[4:5], off
	v_add_u32_e32 v2, 0x800, v8
	ds_read2_b64 v[2:5], v2 offset0:14 offset1:149
	v_lshlrev_b64 v[6:7], 3, v[0:1]
	v_add_u32_e32 v0, 0x195, v62
	v_add_co_u32_e32 v6, vcc, v9, v6
	v_addc_co_u32_e32 v7, vcc, v10, v7, vcc
	s_waitcnt lgkmcnt(0)
	global_store_dwordx2 v[6:7], v[2:3], off
	v_lshlrev_b64 v[2:3], 3, v[0:1]
	v_add_u32_e32 v0, 0x21c, v62
	v_add_co_u32_e32 v2, vcc, v9, v2
	v_addc_co_u32_e32 v3, vcc, v10, v3, vcc
	global_store_dwordx2 v[2:3], v[4:5], off
	v_add_u32_e32 v2, 0x1000, v8
	ds_read2_b64 v[2:5], v2 offset0:28 offset1:163
	v_lshlrev_b64 v[6:7], 3, v[0:1]
	v_add_u32_e32 v0, 0x2a3, v62
	v_add_co_u32_e32 v6, vcc, v9, v6
	v_addc_co_u32_e32 v7, vcc, v10, v7, vcc
	s_waitcnt lgkmcnt(0)
	global_store_dwordx2 v[6:7], v[2:3], off
	v_lshlrev_b64 v[2:3], 3, v[0:1]
	v_add_u32_e32 v0, 0x32a, v62
	v_add_co_u32_e32 v2, vcc, v9, v2
	v_addc_co_u32_e32 v3, vcc, v10, v3, vcc
	global_store_dwordx2 v[2:3], v[4:5], off
	v_add_u32_e32 v2, 0x1800, v8
	ds_read2_b64 v[2:5], v2 offset0:42 offset1:177
	v_lshlrev_b64 v[6:7], 3, v[0:1]
	v_add_u32_e32 v0, 0x3b1, v62
	v_add_co_u32_e32 v6, vcc, v9, v6
	v_addc_co_u32_e32 v7, vcc, v10, v7, vcc
	s_waitcnt lgkmcnt(0)
	global_store_dwordx2 v[6:7], v[2:3], off
	v_lshlrev_b64 v[2:3], 3, v[0:1]
	v_add_u32_e32 v0, 0x438, v62
	v_add_co_u32_e32 v2, vcc, v9, v2
	v_addc_co_u32_e32 v3, vcc, v10, v3, vcc
	global_store_dwordx2 v[2:3], v[4:5], off
	v_add_u32_e32 v2, 0x2000, v8
	ds_read2_b64 v[2:5], v2 offset0:56 offset1:191
	v_lshlrev_b64 v[6:7], 3, v[0:1]
	v_add_u32_e32 v0, 0x4bf, v62
	v_add_co_u32_e32 v6, vcc, v9, v6
	v_addc_co_u32_e32 v7, vcc, v10, v7, vcc
	s_waitcnt lgkmcnt(0)
	global_store_dwordx2 v[6:7], v[2:3], off
	v_lshlrev_b64 v[2:3], 3, v[0:1]
	v_add_u32_e32 v0, 0x546, v62
	v_add_co_u32_e32 v2, vcc, v9, v2
	v_addc_co_u32_e32 v3, vcc, v10, v3, vcc
	global_store_dwordx2 v[2:3], v[4:5], off
	v_add_u32_e32 v2, 0x2800, v8
	ds_read2_b64 v[2:5], v2 offset0:70 offset1:205
	v_lshlrev_b64 v[6:7], 3, v[0:1]
	v_add_u32_e32 v0, 0x5cd, v62
	v_add_co_u32_e32 v6, vcc, v9, v6
	v_addc_co_u32_e32 v7, vcc, v10, v7, vcc
	s_waitcnt lgkmcnt(0)
	global_store_dwordx2 v[6:7], v[2:3], off
	v_lshlrev_b64 v[2:3], 3, v[0:1]
	v_add_u32_e32 v0, 0x654, v62
	v_add_co_u32_e32 v2, vcc, v9, v2
	v_addc_co_u32_e32 v3, vcc, v10, v3, vcc
	global_store_dwordx2 v[2:3], v[4:5], off
	v_add_u32_e32 v2, 0x3000, v8
	ds_read2_b64 v[2:5], v2 offset0:84 offset1:219
	v_lshlrev_b64 v[6:7], 3, v[0:1]
	v_add_u32_e32 v0, 0x6db, v62
	v_add_co_u32_e32 v6, vcc, v9, v6
	v_addc_co_u32_e32 v7, vcc, v10, v7, vcc
	s_waitcnt lgkmcnt(0)
	global_store_dwordx2 v[6:7], v[2:3], off
	v_lshlrev_b64 v[2:3], 3, v[0:1]
	v_add_u32_e32 v0, 0x762, v62
	v_add_co_u32_e32 v2, vcc, v9, v2
	v_addc_co_u32_e32 v3, vcc, v10, v3, vcc
	global_store_dwordx2 v[2:3], v[4:5], off
	v_add_u32_e32 v2, 0x3800, v8
	ds_read2_b64 v[2:5], v2 offset0:98 offset1:233
	v_lshlrev_b64 v[6:7], 3, v[0:1]
	v_add_u32_e32 v0, 0x7e9, v62
	v_add_co_u32_e32 v6, vcc, v9, v6
	v_addc_co_u32_e32 v7, vcc, v10, v7, vcc
	s_waitcnt lgkmcnt(0)
	global_store_dwordx2 v[6:7], v[2:3], off
	v_lshlrev_b64 v[2:3], 3, v[0:1]
	v_add_u32_e32 v0, 0x870, v62
	v_add_co_u32_e32 v2, vcc, v9, v2
	v_addc_co_u32_e32 v3, vcc, v10, v3, vcc
	global_store_dwordx2 v[2:3], v[4:5], off
	v_add_u32_e32 v2, 0x4000, v8
	ds_read2_b64 v[2:5], v2 offset0:112 offset1:247
	v_lshlrev_b64 v[6:7], 3, v[0:1]
	v_add_u32_e32 v0, 0x8f7, v62
	v_add_co_u32_e32 v6, vcc, v9, v6
	v_addc_co_u32_e32 v7, vcc, v10, v7, vcc
	s_waitcnt lgkmcnt(0)
	global_store_dwordx2 v[6:7], v[2:3], off
	v_lshlrev_b64 v[2:3], 3, v[0:1]
	v_add_u32_e32 v0, 0x97e, v62
	v_add_co_u32_e32 v2, vcc, v9, v2
	v_addc_co_u32_e32 v3, vcc, v10, v3, vcc
	global_store_dwordx2 v[2:3], v[4:5], off
	v_add_u32_e32 v2, 0x4a00, v8
	ds_read2_b64 v[2:5], v2 offset0:62 offset1:197
	v_lshlrev_b64 v[6:7], 3, v[0:1]
	v_add_u32_e32 v0, 0xa05, v62
	v_add_co_u32_e32 v6, vcc, v9, v6
	v_addc_co_u32_e32 v7, vcc, v10, v7, vcc
	s_waitcnt lgkmcnt(0)
	global_store_dwordx2 v[6:7], v[2:3], off
	v_lshlrev_b64 v[2:3], 3, v[0:1]
	v_add_u32_e32 v0, 0xa8c, v62
	v_add_co_u32_e32 v2, vcc, v9, v2
	v_addc_co_u32_e32 v3, vcc, v10, v3, vcc
	global_store_dwordx2 v[2:3], v[4:5], off
	v_add_u32_e32 v2, 0x5400, v8
	ds_read2_b64 v[2:5], v2 offset0:12 offset1:147
	v_lshlrev_b64 v[6:7], 3, v[0:1]
	v_add_u32_e32 v0, 0xb13, v62
	v_add_co_u32_e32 v6, vcc, v9, v6
	v_addc_co_u32_e32 v7, vcc, v10, v7, vcc
	s_waitcnt lgkmcnt(0)
	global_store_dwordx2 v[6:7], v[2:3], off
	v_lshlrev_b64 v[2:3], 3, v[0:1]
	v_add_u32_e32 v0, 0xb9a, v62
	v_add_co_u32_e32 v2, vcc, v9, v2
	v_addc_co_u32_e32 v3, vcc, v10, v3, vcc
	global_store_dwordx2 v[2:3], v[4:5], off
	v_add_u32_e32 v2, 0x5c00, v8
	ds_read2_b64 v[2:5], v2 offset0:26 offset1:161
	v_lshlrev_b64 v[6:7], 3, v[0:1]
	v_add_u32_e32 v0, 0xc21, v62
	v_add_co_u32_e32 v6, vcc, v9, v6
	v_addc_co_u32_e32 v7, vcc, v10, v7, vcc
	s_waitcnt lgkmcnt(0)
	global_store_dwordx2 v[6:7], v[2:3], off
	v_lshlrev_b64 v[2:3], 3, v[0:1]
	v_add_u32_e32 v0, 0xca8, v62
	v_add_co_u32_e32 v2, vcc, v9, v2
	v_addc_co_u32_e32 v3, vcc, v10, v3, vcc
	global_store_dwordx2 v[2:3], v[4:5], off
	v_add_u32_e32 v2, 0x6400, v8
	ds_read2_b64 v[2:5], v2 offset0:40 offset1:175
	v_lshlrev_b64 v[6:7], 3, v[0:1]
	v_add_u32_e32 v0, 0xd2f, v62
	v_add_co_u32_e32 v6, vcc, v9, v6
	v_addc_co_u32_e32 v7, vcc, v10, v7, vcc
	s_waitcnt lgkmcnt(0)
	global_store_dwordx2 v[6:7], v[2:3], off
	v_lshlrev_b64 v[2:3], 3, v[0:1]
	v_add_u32_e32 v0, 0xdb6, v62
	v_add_co_u32_e32 v2, vcc, v9, v2
	v_addc_co_u32_e32 v3, vcc, v10, v3, vcc
	global_store_dwordx2 v[2:3], v[4:5], off
	v_add_u32_e32 v2, 0x6c00, v8
	ds_read2_b64 v[2:5], v2 offset0:54 offset1:189
	v_lshlrev_b64 v[6:7], 3, v[0:1]
	v_add_u32_e32 v0, 0xe3d, v62
	v_add_co_u32_e32 v6, vcc, v9, v6
	v_addc_co_u32_e32 v7, vcc, v10, v7, vcc
	s_waitcnt lgkmcnt(0)
	global_store_dwordx2 v[6:7], v[2:3], off
	v_lshlrev_b64 v[2:3], 3, v[0:1]
	v_add_u32_e32 v0, 0xec4, v62
	v_add_co_u32_e32 v2, vcc, v9, v2
	v_addc_co_u32_e32 v3, vcc, v10, v3, vcc
	global_store_dwordx2 v[2:3], v[4:5], off
	v_add_u32_e32 v2, 0x7400, v8
	v_lshlrev_b64 v[6:7], 3, v[0:1]
	ds_read2_b64 v[2:5], v2 offset0:68 offset1:203
	v_add_u32_e32 v0, 0xf4b, v62
	v_add_co_u32_e32 v6, vcc, v9, v6
	v_lshlrev_b64 v[0:1], 3, v[0:1]
	v_addc_co_u32_e32 v7, vcc, v10, v7, vcc
	v_add_co_u32_e32 v0, vcc, v9, v0
	v_addc_co_u32_e32 v1, vcc, v10, v1, vcc
	s_waitcnt lgkmcnt(0)
	global_store_dwordx2 v[6:7], v[2:3], off
	global_store_dwordx2 v[0:1], v[4:5], off
.LBB0_21:
	s_endpgm
	.section	.rodata,"a",@progbits
	.p2align	6, 0x0
	.amdhsa_kernel fft_rtc_back_len4050_factors_10_5_3_3_3_3_wgs_135_tpt_135_halfLds_sp_op_CI_CI_unitstride_sbrr_C2R_dirReg
		.amdhsa_group_segment_fixed_size 0
		.amdhsa_private_segment_fixed_size 0
		.amdhsa_kernarg_size 104
		.amdhsa_user_sgpr_count 6
		.amdhsa_user_sgpr_private_segment_buffer 1
		.amdhsa_user_sgpr_dispatch_ptr 0
		.amdhsa_user_sgpr_queue_ptr 0
		.amdhsa_user_sgpr_kernarg_segment_ptr 1
		.amdhsa_user_sgpr_dispatch_id 0
		.amdhsa_user_sgpr_flat_scratch_init 0
		.amdhsa_user_sgpr_private_segment_size 0
		.amdhsa_uses_dynamic_stack 0
		.amdhsa_system_sgpr_private_segment_wavefront_offset 0
		.amdhsa_system_sgpr_workgroup_id_x 1
		.amdhsa_system_sgpr_workgroup_id_y 0
		.amdhsa_system_sgpr_workgroup_id_z 0
		.amdhsa_system_sgpr_workgroup_info 0
		.amdhsa_system_vgpr_workitem_id 0
		.amdhsa_next_free_vgpr 121
		.amdhsa_next_free_sgpr 28
		.amdhsa_reserve_vcc 1
		.amdhsa_reserve_flat_scratch 0
		.amdhsa_float_round_mode_32 0
		.amdhsa_float_round_mode_16_64 0
		.amdhsa_float_denorm_mode_32 3
		.amdhsa_float_denorm_mode_16_64 3
		.amdhsa_dx10_clamp 1
		.amdhsa_ieee_mode 1
		.amdhsa_fp16_overflow 0
		.amdhsa_exception_fp_ieee_invalid_op 0
		.amdhsa_exception_fp_denorm_src 0
		.amdhsa_exception_fp_ieee_div_zero 0
		.amdhsa_exception_fp_ieee_overflow 0
		.amdhsa_exception_fp_ieee_underflow 0
		.amdhsa_exception_fp_ieee_inexact 0
		.amdhsa_exception_int_div_zero 0
	.end_amdhsa_kernel
	.text
.Lfunc_end0:
	.size	fft_rtc_back_len4050_factors_10_5_3_3_3_3_wgs_135_tpt_135_halfLds_sp_op_CI_CI_unitstride_sbrr_C2R_dirReg, .Lfunc_end0-fft_rtc_back_len4050_factors_10_5_3_3_3_3_wgs_135_tpt_135_halfLds_sp_op_CI_CI_unitstride_sbrr_C2R_dirReg
                                        ; -- End function
	.section	.AMDGPU.csdata,"",@progbits
; Kernel info:
; codeLenInByte = 20224
; NumSgprs: 32
; NumVgprs: 121
; ScratchSize: 0
; MemoryBound: 0
; FloatMode: 240
; IeeeMode: 1
; LDSByteSize: 0 bytes/workgroup (compile time only)
; SGPRBlocks: 3
; VGPRBlocks: 30
; NumSGPRsForWavesPerEU: 32
; NumVGPRsForWavesPerEU: 121
; Occupancy: 2
; WaveLimiterHint : 1
; COMPUTE_PGM_RSRC2:SCRATCH_EN: 0
; COMPUTE_PGM_RSRC2:USER_SGPR: 6
; COMPUTE_PGM_RSRC2:TRAP_HANDLER: 0
; COMPUTE_PGM_RSRC2:TGID_X_EN: 1
; COMPUTE_PGM_RSRC2:TGID_Y_EN: 0
; COMPUTE_PGM_RSRC2:TGID_Z_EN: 0
; COMPUTE_PGM_RSRC2:TIDIG_COMP_CNT: 0
	.type	__hip_cuid_acce206f2250755c,@object ; @__hip_cuid_acce206f2250755c
	.section	.bss,"aw",@nobits
	.globl	__hip_cuid_acce206f2250755c
__hip_cuid_acce206f2250755c:
	.byte	0                               ; 0x0
	.size	__hip_cuid_acce206f2250755c, 1

	.ident	"AMD clang version 19.0.0git (https://github.com/RadeonOpenCompute/llvm-project roc-6.4.0 25133 c7fe45cf4b819c5991fe208aaa96edf142730f1d)"
	.section	".note.GNU-stack","",@progbits
	.addrsig
	.addrsig_sym __hip_cuid_acce206f2250755c
	.amdgpu_metadata
---
amdhsa.kernels:
  - .args:
      - .actual_access:  read_only
        .address_space:  global
        .offset:         0
        .size:           8
        .value_kind:     global_buffer
      - .offset:         8
        .size:           8
        .value_kind:     by_value
      - .actual_access:  read_only
        .address_space:  global
        .offset:         16
        .size:           8
        .value_kind:     global_buffer
      - .actual_access:  read_only
        .address_space:  global
        .offset:         24
        .size:           8
        .value_kind:     global_buffer
      - .actual_access:  read_only
        .address_space:  global
        .offset:         32
        .size:           8
        .value_kind:     global_buffer
      - .offset:         40
        .size:           8
        .value_kind:     by_value
      - .actual_access:  read_only
        .address_space:  global
        .offset:         48
        .size:           8
        .value_kind:     global_buffer
      - .actual_access:  read_only
        .address_space:  global
        .offset:         56
        .size:           8
        .value_kind:     global_buffer
      - .offset:         64
        .size:           4
        .value_kind:     by_value
      - .actual_access:  read_only
        .address_space:  global
        .offset:         72
        .size:           8
        .value_kind:     global_buffer
      - .actual_access:  read_only
        .address_space:  global
        .offset:         80
        .size:           8
        .value_kind:     global_buffer
      - .actual_access:  read_only
        .address_space:  global
        .offset:         88
        .size:           8
        .value_kind:     global_buffer
      - .actual_access:  write_only
        .address_space:  global
        .offset:         96
        .size:           8
        .value_kind:     global_buffer
    .group_segment_fixed_size: 0
    .kernarg_segment_align: 8
    .kernarg_segment_size: 104
    .language:       OpenCL C
    .language_version:
      - 2
      - 0
    .max_flat_workgroup_size: 135
    .name:           fft_rtc_back_len4050_factors_10_5_3_3_3_3_wgs_135_tpt_135_halfLds_sp_op_CI_CI_unitstride_sbrr_C2R_dirReg
    .private_segment_fixed_size: 0
    .sgpr_count:     32
    .sgpr_spill_count: 0
    .symbol:         fft_rtc_back_len4050_factors_10_5_3_3_3_3_wgs_135_tpt_135_halfLds_sp_op_CI_CI_unitstride_sbrr_C2R_dirReg.kd
    .uniform_work_group_size: 1
    .uses_dynamic_stack: false
    .vgpr_count:     121
    .vgpr_spill_count: 0
    .wavefront_size: 64
amdhsa.target:   amdgcn-amd-amdhsa--gfx906
amdhsa.version:
  - 1
  - 2
...

	.end_amdgpu_metadata
